;; amdgpu-corpus repo=ROCm/rocFFT kind=compiled arch=gfx1201 opt=O3
	.text
	.amdgcn_target "amdgcn-amd-amdhsa--gfx1201"
	.amdhsa_code_object_version 6
	.protected	bluestein_single_fwd_len16384_dim1_half_op_CI_CI ; -- Begin function bluestein_single_fwd_len16384_dim1_half_op_CI_CI
	.globl	bluestein_single_fwd_len16384_dim1_half_op_CI_CI
	.p2align	8
	.type	bluestein_single_fwd_len16384_dim1_half_op_CI_CI,@function
bluestein_single_fwd_len16384_dim1_half_op_CI_CI: ; @bluestein_single_fwd_len16384_dim1_half_op_CI_CI
; %bb.0:
	s_load_b128 s[16:19], s[0:1], 0x28
	s_mov_b32 s2, ttmp9
	s_mov_b32 s3, 0
	s_mov_b32 s5, exec_lo
	s_wait_kmcnt 0x0
	v_cmpx_lt_u64_e64 s[2:3], s[16:17]
	s_cbranch_execz .LBB0_2
; %bb.1:
	s_clause 0x1
	s_load_b128 s[4:7], s[0:1], 0x18
	s_load_b128 s[8:11], s[0:1], 0x0
	v_dual_mov_b32 v51, s3 :: v_dual_lshlrev_b32 v52, 2, v0
	v_mov_b32_e32 v50, s2
	s_mov_b32 s2, 0xffff2800
	s_mov_b32 s3, -1
	v_lshlrev_b32_e32 v146, 5, v0
	s_load_b64 s[0:1], s[0:1], 0x38
	s_wait_kmcnt 0x0
	s_load_b128 s[12:15], s[4:5], 0x0
	s_clause 0x1f
	global_load_b32 v67, v52, s[8:9] offset:40960
	global_load_b32 v71, v52, s[8:9] offset:57344
	global_load_b32 v63, v52, s[8:9] offset:59392
	global_load_b32 v97, v52, s[8:9]
	global_load_b32 v82, v52, s[8:9] offset:2048
	global_load_b32 v64, v52, s[8:9] offset:4096
	;; [unrolled: 1-line block ×28, first 2 shown]
	s_wait_kmcnt 0x0
	v_mad_co_u64_u32 v[1:2], null, s14, v50, 0
	v_mad_co_u64_u32 v[3:4], null, s12, v0, 0
	s_lshl_b64 s[4:5], s[12:13], 13
	s_delay_alu instid0(VALU_DEP_1) | instskip(NEXT) | instid1(VALU_DEP_1)
	v_mad_co_u64_u32 v[5:6], null, s15, v50, v[2:3]
	v_mad_co_u64_u32 v[6:7], null, s13, v0, v[4:5]
	v_mov_b32_e32 v2, v5
	s_mul_u64 s[12:13], s[12:13], s[2:3]
	s_delay_alu instid0(VALU_DEP_1) | instskip(NEXT) | instid1(VALU_DEP_3)
	v_lshlrev_b64_e32 v[1:2], 2, v[1:2]
	v_mov_b32_e32 v4, v6
	s_delay_alu instid0(VALU_DEP_2) | instskip(NEXT) | instid1(VALU_DEP_2)
	v_add_co_u32 v1, vcc_lo, s18, v1
	v_lshlrev_b64_e32 v[3:4], 2, v[3:4]
	s_delay_alu instid0(VALU_DEP_4) | instskip(NEXT) | instid1(VALU_DEP_2)
	v_add_co_ci_u32_e32 v2, vcc_lo, s19, v2, vcc_lo
	v_add_co_u32 v1, vcc_lo, v1, v3
	s_wait_alu 0xfffd
	s_delay_alu instid0(VALU_DEP_2) | instskip(SKIP_4) | instid1(VALU_DEP_2)
	v_add_co_ci_u32_e32 v2, vcc_lo, v2, v4, vcc_lo
	global_load_b32 v5, v[1:2], off
	v_add_co_u32 v1, vcc_lo, v1, s4
	s_wait_alu 0xfffd
	v_add_co_ci_u32_e32 v2, vcc_lo, s5, v2, vcc_lo
	v_add_co_u32 v3, vcc_lo, v1, s4
	s_wait_alu 0xfffd
	s_delay_alu instid0(VALU_DEP_2)
	v_add_co_ci_u32_e32 v4, vcc_lo, s5, v2, vcc_lo
	s_clause 0x1
	global_load_b32 v6, v[1:2], off
	global_load_b32 v7, v[3:4], off
	v_add_co_u32 v1, vcc_lo, v3, s4
	s_wait_alu 0xfffd
	v_add_co_ci_u32_e32 v2, vcc_lo, s5, v4, vcc_lo
	s_delay_alu instid0(VALU_DEP_2) | instskip(SKIP_1) | instid1(VALU_DEP_2)
	v_add_co_u32 v3, vcc_lo, v1, s4
	s_wait_alu 0xfffd
	v_add_co_ci_u32_e32 v4, vcc_lo, s5, v2, vcc_lo
	s_clause 0x1
	global_load_b32 v8, v[1:2], off
	global_load_b32 v9, v[3:4], off
	v_add_co_u32 v1, vcc_lo, v3, s4
	s_wait_alu 0xfffd
	v_add_co_ci_u32_e32 v2, vcc_lo, s5, v4, vcc_lo
	s_delay_alu instid0(VALU_DEP_2) | instskip(SKIP_1) | instid1(VALU_DEP_2)
	v_add_co_u32 v3, vcc_lo, v1, s4
	s_wait_alu 0xfffd
	v_add_co_ci_u32_e32 v4, vcc_lo, s5, v2, vcc_lo
	global_load_b32 v10, v[1:2], off
	v_add_co_u32 v1, vcc_lo, v3, s4
	s_wait_alu 0xfffd
	v_add_co_ci_u32_e32 v2, vcc_lo, s5, v4, vcc_lo
	global_load_b32 v11, v[3:4], off
	s_wait_alu 0xfffe
	v_add_co_u32 v3, vcc_lo, v1, s12
	s_wait_alu 0xfffd
	v_add_co_ci_u32_e32 v4, vcc_lo, s13, v2, vcc_lo
	global_load_b32 v12, v[1:2], off
	global_load_b32 v13, v[3:4], off
	v_add_co_u32 v1, vcc_lo, v3, s4
	s_wait_alu 0xfffd
	v_add_co_ci_u32_e32 v2, vcc_lo, s5, v4, vcc_lo
	s_delay_alu instid0(VALU_DEP_2) | instskip(SKIP_1) | instid1(VALU_DEP_2)
	v_add_co_u32 v3, vcc_lo, v1, s4
	s_wait_alu 0xfffd
	v_add_co_ci_u32_e32 v4, vcc_lo, s5, v2, vcc_lo
	global_load_b32 v14, v[1:2], off
	v_add_co_u32 v1, vcc_lo, v3, s4
	s_wait_alu 0xfffd
	v_add_co_ci_u32_e32 v2, vcc_lo, s5, v4, vcc_lo
	global_load_b32 v15, v[3:4], off
	global_load_b32 v16, v[1:2], off
	v_add_co_u32 v1, vcc_lo, v1, s4
	s_wait_alu 0xfffd
	v_add_co_ci_u32_e32 v2, vcc_lo, s5, v2, vcc_lo
	s_delay_alu instid0(VALU_DEP_2) | instskip(SKIP_1) | instid1(VALU_DEP_2)
	v_add_co_u32 v3, vcc_lo, v1, s4
	s_wait_alu 0xfffd
	v_add_co_ci_u32_e32 v4, vcc_lo, s5, v2, vcc_lo
	global_load_b32 v17, v[1:2], off
	global_load_b32 v18, v[3:4], off
	v_add_co_u32 v1, vcc_lo, v3, s4
	s_wait_alu 0xfffd
	v_add_co_ci_u32_e32 v2, vcc_lo, s5, v4, vcc_lo
	s_delay_alu instid0(VALU_DEP_2) | instskip(SKIP_1) | instid1(VALU_DEP_2)
	;; [unrolled: 9-line block ×4, first 2 shown]
	v_add_co_u32 v3, vcc_lo, v1, s4
	s_wait_alu 0xfffd
	v_add_co_ci_u32_e32 v4, vcc_lo, s5, v2, vcc_lo
	global_load_b32 v23, v[1:2], off
	v_add_co_u32 v1, vcc_lo, v3, s4
	s_wait_alu 0xfffd
	v_add_co_ci_u32_e32 v2, vcc_lo, s5, v4, vcc_lo
	global_load_b32 v24, v[3:4], off
	global_load_b32 v25, v[1:2], off
	v_add_co_u32 v1, vcc_lo, v1, s4
	s_wait_alu 0xfffd
	v_add_co_ci_u32_e32 v2, vcc_lo, s5, v2, vcc_lo
	s_delay_alu instid0(VALU_DEP_2) | instskip(SKIP_1) | instid1(VALU_DEP_2)
	v_add_co_u32 v3, vcc_lo, v1, s4
	s_wait_alu 0xfffd
	v_add_co_ci_u32_e32 v4, vcc_lo, s5, v2, vcc_lo
	global_load_b32 v26, v[1:2], off
	v_add_co_u32 v1, vcc_lo, v3, s4
	s_wait_alu 0xfffd
	v_add_co_ci_u32_e32 v2, vcc_lo, s5, v4, vcc_lo
	global_load_b32 v27, v[3:4], off
	v_add_co_u32 v3, vcc_lo, v1, s12
	s_wait_alu 0xfffd
	v_add_co_ci_u32_e32 v4, vcc_lo, s13, v2, vcc_lo
	global_load_b32 v28, v[1:2], off
	global_load_b32 v29, v[3:4], off
	v_add_co_u32 v1, vcc_lo, v3, s4
	s_wait_alu 0xfffd
	v_add_co_ci_u32_e32 v2, vcc_lo, s5, v4, vcc_lo
	s_delay_alu instid0(VALU_DEP_2) | instskip(SKIP_1) | instid1(VALU_DEP_2)
	v_add_co_u32 v3, vcc_lo, v1, s4
	s_wait_alu 0xfffd
	v_add_co_ci_u32_e32 v4, vcc_lo, s5, v2, vcc_lo
	global_load_b32 v30, v[1:2], off
	v_add_co_u32 v1, vcc_lo, v3, s4
	s_wait_alu 0xfffd
	v_add_co_ci_u32_e32 v2, vcc_lo, s5, v4, vcc_lo
	global_load_b32 v31, v[3:4], off
	global_load_b32 v32, v[1:2], off
	v_add_co_u32 v1, vcc_lo, v1, s4
	s_wait_alu 0xfffd
	v_add_co_ci_u32_e32 v2, vcc_lo, s5, v2, vcc_lo
	s_delay_alu instid0(VALU_DEP_2) | instskip(SKIP_1) | instid1(VALU_DEP_2)
	v_add_co_u32 v3, vcc_lo, v1, s4
	s_wait_alu 0xfffd
	v_add_co_ci_u32_e32 v4, vcc_lo, s5, v2, vcc_lo
	global_load_b32 v33, v[1:2], off
	v_add_co_u32 v1, vcc_lo, v3, s4
	s_wait_alu 0xfffd
	v_add_co_ci_u32_e32 v2, vcc_lo, s5, v4, vcc_lo
	global_load_b32 v34, v[3:4], off
	;; [unrolled: 4-line block ×3, first 2 shown]
	global_load_b32 v2, v[3:4], off
	s_load_b128 s[4:7], s[6:7], 0x0
	s_wait_kmcnt 0x0
	s_mul_u64 s[2:3], s[4:5], s[2:3]
	s_wait_loadcnt 0x3c
	v_lshrrev_b32_e32 v115, 16, v97
	s_wait_loadcnt 0x3b
	v_lshrrev_b32_e32 v107, 16, v82
	s_wait_loadcnt 0x3a
	v_lshrrev_b32_e32 v96, 16, v64
	s_wait_loadcnt 0x39
	v_lshrrev_b32_e32 v113, 16, v91
	s_wait_loadcnt 0x38
	v_lshrrev_b32_e32 v105, 16, v77
	v_lshrrev_b32_e32 v110, 16, v67
	s_wait_loadcnt 0x36
	v_lshrrev_b32_e32 v111, 16, v94
	s_wait_loadcnt 0x2b
	v_lshrrev_b32_e32 v112, 16, v101
	v_lshrrev_b32_e32 v109, 16, v93
	;; [unrolled: 1-line block ×5, first 2 shown]
	s_wait_loadcnt 0x2a
	v_lshrrev_b32_e32 v104, 16, v88
	v_lshrrev_b32_e32 v102, 16, v79
	s_wait_loadcnt 0x26
	v_lshrrev_b32_e32 v100, 16, v87
	v_lshrrev_b32_e32 v99, 16, v80
	;; [unrolled: 1-line block ×7, first 2 shown]
	s_wait_loadcnt 0x25
	v_lshrrev_b32_e32 v85, 16, v70
	v_lshrrev_b32_e32 v84, 16, v62
	s_wait_loadcnt 0x22
	v_lshrrev_b32_e32 v83, 16, v65
	v_lshrrev_b32_e32 v81, 16, v59
	;; [unrolled: 1-line block ×7, first 2 shown]
	s_wait_loadcnt 0x20
	v_lshrrev_b32_e32 v68, 16, v56
	v_lshrrev_b32_e32 v66, 16, v54
	s_wait_loadcnt 0x1f
	v_lshrrev_b32_e32 v3, 16, v5
	v_mul_f16_e32 v4, v115, v5
	s_delay_alu instid0(VALU_DEP_2) | instskip(NEXT) | instid1(VALU_DEP_2)
	v_mul_f16_e32 v35, v115, v3
	v_fma_f16 v3, v97, v3, -v4
	s_wait_loadcnt 0x1e
	v_lshrrev_b32_e32 v36, 16, v6
	v_mul_f16_e32 v37, v114, v6
	v_fmac_f16_e32 v35, v97, v5
	s_wait_loadcnt 0x1d
	v_lshrrev_b32_e32 v5, 16, v7
	v_mul_f16_e32 v4, v114, v36
	v_fma_f16 v36, v103, v36, -v37
	v_mul_f16_e32 v37, v113, v7
	v_pack_b32_f16 v3, v35, v3
	s_delay_alu instid0(VALU_DEP_4) | instskip(SKIP_1) | instid1(VALU_DEP_4)
	v_fmac_f16_e32 v4, v103, v6
	v_mul_f16_e32 v6, v113, v5
	v_fma_f16 v5, v91, v5, -v37
	s_wait_loadcnt 0x1c
	v_lshrrev_b32_e32 v35, 16, v8
	v_mul_f16_e32 v37, v112, v8
	v_pack_b32_f16 v4, v4, v36
	v_fmac_f16_e32 v6, v91, v7
	s_wait_loadcnt 0x1b
	v_lshrrev_b32_e32 v36, 16, v9
	v_mul_f16_e32 v7, v112, v35
	v_fma_f16 v35, v101, v35, -v37
	v_mul_f16_e32 v37, v111, v9
	v_pack_b32_f16 v5, v6, v5
	v_mul_f16_e32 v6, v111, v36
	v_fmac_f16_e32 v7, v101, v8
	s_delay_alu instid0(VALU_DEP_4)
	v_fma_f16 v36, v94, v36, -v37
	s_wait_loadcnt 0x1a
	v_lshrrev_b32_e32 v8, 16, v10
	v_mul_f16_e32 v37, v110, v10
	v_pack_b32_f16 v7, v7, v35
	v_fmac_f16_e32 v6, v94, v9
	s_delay_alu instid0(VALU_DEP_4)
	v_mul_f16_e32 v9, v110, v8
	s_wait_loadcnt 0x19
	v_lshrrev_b32_e32 v35, 16, v11
	v_fma_f16 v8, v67, v8, -v37
	v_mul_f16_e32 v37, v109, v11
	v_pack_b32_f16 v6, v6, v36
	v_fmac_f16_e32 v9, v67, v10
	v_mul_f16_e32 v10, v109, v35
	s_wait_loadcnt 0x18
	v_lshrrev_b32_e32 v36, 16, v12
	v_fma_f16 v35, v93, v35, -v37
	v_mul_f16_e32 v37, v108, v12
	v_pack_b32_f16 v8, v9, v8
	v_fmac_f16_e32 v10, v93, v11
	;; [unrolled: 7-line block ×4, first 2 shown]
	v_mul_f16_e32 v13, v106, v35
	s_wait_loadcnt 0x15
	v_lshrrev_b32_e32 v36, 16, v15
	v_mul_f16_e32 v38, v105, v15
	v_fma_f16 v35, v89, v35, -v37
	v_pack_b32_f16 v11, v12, v11
	v_fmac_f16_e32 v13, v89, v14
	v_mul_f16_e32 v12, v105, v36
	v_fma_f16 v14, v77, v36, -v38
	s_wait_loadcnt 0x14
	v_lshrrev_b32_e32 v36, 16, v16
	v_mul_f16_e32 v37, v104, v16
	ds_store_2addr_stride64_b32 v52, v3, v11 offset1:8
	v_pack_b32_f16 v3, v13, v35
	v_fmac_f16_e32 v12, v77, v15
	v_mul_f16_e32 v11, v104, v36
	s_wait_loadcnt 0x13
	v_lshrrev_b32_e32 v15, 16, v17
	v_mul_f16_e32 v35, v102, v17
	v_fma_f16 v13, v88, v36, -v37
	ds_store_2addr_stride64_b32 v52, v4, v3 offset0:32 offset1:40
	v_pack_b32_f16 v3, v12, v14
	v_fmac_f16_e32 v11, v88, v16
	v_mul_f16_e32 v4, v102, v15
	v_fma_f16 v12, v79, v15, -v35
	s_wait_loadcnt 0x12
	v_lshrrev_b32_e32 v14, 16, v18
	v_mul_f16_e32 v15, v100, v18
	ds_store_2addr_stride64_b32 v52, v5, v3 offset0:64 offset1:72
	v_pack_b32_f16 v3, v11, v13
	v_fmac_f16_e32 v4, v79, v17
	v_mul_f16_e32 v5, v100, v14
	v_fma_f16 v11, v87, v14, -v15
	s_wait_loadcnt 0x11
	v_lshrrev_b32_e32 v13, 16, v19
	v_mul_f16_e32 v14, v99, v19
	;; [unrolled: 8-line block ×6, first 2 shown]
	ds_store_2addr_stride64_b32 v52, v9, v3 offset0:224 offset1:232
	v_pack_b32_f16 v3, v4, v7
	v_fmac_f16_e32 v5, v73, v22
	v_mul_f16_e32 v4, v92, v8
	s_wait_loadcnt 0xc
	v_lshrrev_b32_e32 v7, 16, v24
	v_fma_f16 v8, v61, v8, -v10
	v_mul_f16_e32 v9, v90, v24
	v_pack_b32_f16 v5, v5, v6
	v_fmac_f16_e32 v4, v61, v23
	v_mul_f16_e32 v6, v90, v7
	s_wait_loadcnt 0xb
	v_lshrrev_b32_e32 v10, 16, v25
	v_fma_f16 v7, v69, v7, -v9
	v_mul_f16_e32 v9, v86, v25
	;; [unrolled: 7-line block ×7, first 2 shown]
	v_pack_b32_f16 v10, v10, v12
	v_fmac_f16_e32 v11, v59, v29
	v_mul_f16_e32 v12, v78, v15
	s_wait_loadcnt 0x5
	v_lshrrev_b32_e32 v16, 16, v31
	v_mul_f16_e32 v17, v76, v31
	v_fma_f16 v14, v55, v15, -v14
	v_pack_b32_f16 v11, v11, v13
	v_fmac_f16_e32 v12, v55, v30
	v_mul_f16_e32 v13, v76, v16
	v_fma_f16 v15, v57, v16, -v17
	s_wait_loadcnt 0x4
	v_lshrrev_b32_e32 v16, 16, v32
	v_mul_f16_e32 v17, v75, v32
	ds_store_2addr_stride64_b32 v52, v3, v11 offset0:16 offset1:24
	v_pack_b32_f16 v3, v12, v14
	v_fmac_f16_e32 v13, v57, v31
	v_mul_f16_e32 v11, v75, v16
	v_fma_f16 v12, v53, v16, -v17
	s_wait_loadcnt 0x3
	v_lshrrev_b32_e32 v14, 16, v33
	v_mul_f16_e32 v16, v74, v33
	ds_store_2addr_stride64_b32 v52, v5, v3 offset0:48 offset1:56
	v_pack_b32_f16 v3, v13, v15
	s_wait_loadcnt 0x2
	v_mul_f16_e32 v15, v72, v34
	v_mul_f16_e32 v5, v74, v14
	v_fma_f16 v13, v58, v14, -v16
	v_lshrrev_b32_e32 v14, 16, v34
	ds_store_2addr_stride64_b32 v52, v4, v3 offset0:80 offset1:88
	s_wait_loadcnt 0x1
	v_lshrrev_b32_e32 v3, 16, v1
	s_wait_loadcnt 0x0
	v_lshrrev_b32_e32 v16, 16, v2
	v_mul_f16_e32 v18, v66, v2
	v_mul_f16_e32 v4, v72, v14
	v_fma_f16 v14, v51, v14, -v15
	v_mul_f16_e32 v15, v68, v1
	v_mul_f16_e32 v17, v68, v3
	;; [unrolled: 1-line block ×3, first 2 shown]
	v_fmac_f16_e32 v11, v53, v32
	v_fmac_f16_e32 v5, v58, v33
	;; [unrolled: 1-line block ×3, first 2 shown]
	v_fma_f16 v3, v56, v3, -v15
	v_fmac_f16_e32 v17, v56, v1
	v_fma_f16 v1, v54, v16, -v18
	v_fmac_f16_e32 v19, v54, v2
	v_pack_b32_f16 v2, v11, v12
	v_pack_b32_f16 v5, v5, v13
	;; [unrolled: 1-line block ×5, first 2 shown]
	ds_store_2addr_stride64_b32 v52, v6, v2 offset0:112 offset1:120
	ds_store_2addr_stride64_b32 v52, v8, v5 offset0:144 offset1:152
	;; [unrolled: 1-line block ×5, first 2 shown]
	global_wb scope:SCOPE_SE
	s_wait_dscnt 0x0
	s_barrier_signal -1
	s_barrier_wait -1
	global_inv scope:SCOPE_SE
	ds_load_2addr_stride64_b32 v[1:2], v52 offset1:8
	ds_load_2addr_stride64_b32 v[5:6], v52 offset0:32 offset1:40
	ds_load_2addr_stride64_b32 v[7:8], v52 offset0:64 offset1:72
	;; [unrolled: 1-line block ×15, first 2 shown]
	v_or_b32_e32 v23, 0x200, v0
	global_wb scope:SCOPE_SE
	s_wait_dscnt 0x0
	s_barrier_signal -1
	s_barrier_wait -1
	global_inv scope:SCOPE_SE
	v_lshlrev_b32_e32 v154, 5, v23
	v_or_b32_e32 v4, 0x400, v0
	v_or_b32_e32 v3, 0x600, v0
	v_lshrrev_b32_e32 v44, 16, v2
	v_lshrrev_b32_e32 v45, 16, v6
	;; [unrolled: 1-line block ×14, first 2 shown]
	v_sub_f16_e32 v11, v1, v11
	v_sub_f16_e32 v15, v7, v15
	;; [unrolled: 1-line block ×4, first 2 shown]
	v_lshrrev_b32_e32 v36, 16, v1
	v_lshrrev_b32_e32 v37, 16, v5
	v_sub_f16_e32 v16, v8, v16
	v_sub_f16_e32 v18, v10, v18
	v_fma_f16 v1, v1, 2.0, -v11
	v_sub_f16_e32 v42, v38, v42
	v_fma_f16 v7, v7, 2.0, -v15
	v_fma_f16 v5, v5, 2.0, -v13
	v_sub_f16_e32 v43, v39, v43
	v_fma_f16 v9, v9, 2.0, -v17
	v_sub_f16_e32 v48, v44, v48
	v_sub_f16_e32 v116, v46, v116
	;; [unrolled: 1-line block ×8, first 2 shown]
	v_fma_f16 v8, v8, 2.0, -v16
	v_fma_f16 v10, v10, 2.0, -v18
	;; [unrolled: 1-line block ×4, first 2 shown]
	v_sub_f16_e32 v7, v1, v7
	v_sub_f16_e32 v42, v11, v42
	v_sub_f16_e32 v9, v5, v9
	v_sub_f16_e32 v43, v13, v43
	v_fma_f16 v44, v44, 2.0, -v48
	v_fma_f16 v46, v46, 2.0, -v116
	v_fma_f16 v45, v45, 2.0, -v49
	v_fma_f16 v47, v47, 2.0, -v117
	v_add_f16_e32 v16, v48, v16
	v_add_f16_e32 v18, v49, v18
	v_fma_f16 v2, v2, 2.0, -v12
	v_fma_f16 v6, v6, 2.0, -v14
	;; [unrolled: 1-line block ×4, first 2 shown]
	v_add_f16_e32 v15, v40, v15
	v_add_f16_e32 v17, v41, v17
	v_sub_f16_e32 v116, v12, v116
	v_sub_f16_e32 v117, v14, v117
	v_fma_f16 v1, v1, 2.0, -v7
	v_fma_f16 v5, v5, 2.0, -v9
	v_fma_f16 v134, 0x39a8, v43, v42
	v_sub_f16_e32 v46, v44, v46
	v_fma_f16 v48, v48, 2.0, -v16
	v_sub_f16_e32 v47, v45, v47
	v_fma_f16 v49, v49, 2.0, -v18
	v_lshrrev_b32_e32 v118, 16, v19
	v_lshrrev_b32_e32 v119, 16, v21
	;; [unrolled: 1-line block ×8, first 2 shown]
	v_sub_f16_e32 v28, v19, v28
	v_sub_f16_e32 v32, v24, v32
	;; [unrolled: 1-line block ×5, first 2 shown]
	v_fma_f16 v11, v11, 2.0, -v42
	v_fma_f16 v40, v40, 2.0, -v15
	v_sub_f16_e32 v39, v37, v39
	v_fma_f16 v13, v13, 2.0, -v43
	v_fma_f16 v41, v41, 2.0, -v17
	v_fma_f16 v135, 0x39a8, v17, v15
	v_fma_f16 v12, v12, 2.0, -v116
	v_fma_f16 v14, v14, 2.0, -v117
	v_sub_f16_e64 v138, v1, v5
	v_fmac_f16_e64 v134, 0xb9a8, v17
	v_fma_f16 v5, v44, 2.0, -v46
	v_fma_f16 v17, v45, 2.0, -v47
	v_fmamk_f16 v45, v49, 0xb9a8, v48
	v_sub_f16_e32 v30, v21, v30
	v_sub_f16_e32 v34, v26, v34
	v_sub_f16_e32 v122, v118, v122
	v_fma_f16 v19, v19, 2.0, -v28
	v_sub_f16_e32 v124, v120, v124
	v_fma_f16 v24, v24, 2.0, -v32
	v_sub_f16_e32 v123, v119, v123
	v_sub_f16_e32 v125, v121, v125
	v_fma_f16 v2, v2, 2.0, -v8
	v_fma_f16 v6, v6, 2.0, -v10
	;; [unrolled: 1-line block ×3, first 2 shown]
	v_fma_f16 v139, 0xb9a8, v13, v11
	v_fma_f16 v140, 0xb9a8, v41, v40
	v_sub_f16_e32 v39, v7, v39
	v_add_f16_e32 v9, v38, v9
	v_fmamk_f16 v44, v14, 0xb9a8, v12
	v_sub_f16_e32 v47, v8, v47
	v_sub_f16_e32 v17, v5, v17
	v_fmac_f16_e32 v45, 0x39a8, v14
	v_fma_f16 v21, v21, 2.0, -v30
	v_fma_f16 v118, v118, 2.0, -v122
	;; [unrolled: 1-line block ×3, first 2 shown]
	v_fma_f16 v136, 0x39a8, v117, v116
	v_fma_f16 v36, v36, 2.0, -v38
	v_fmac_f16_e64 v135, 0x39a8, v43
	v_sub_f16_e32 v43, v2, v6
	v_add_f16_e64 v141, v46, v10
	v_fmac_f16_e64 v139, 0xb9a8, v41
	v_fmac_f16_e64 v140, 0x39a8, v13
	v_fma_f16 v6, v7, 2.0, -v39
	v_fma_f16 v7, v38, 2.0, -v9
	;; [unrolled: 1-line block ×3, first 2 shown]
	v_fmac_f16_e32 v44, 0xb9a8, v49
	v_fma_f16 v14, v8, 2.0, -v47
	v_fma_f16 v38, v5, 2.0, -v17
	;; [unrolled: 1-line block ×4, first 2 shown]
	v_sub_f16_e32 v8, v19, v24
	v_fma_f16 v24, v26, 2.0, -v34
	v_fma_f16 v26, v121, 2.0, -v125
	v_sub_f16_e32 v42, v28, v124
	v_sub_f16_e32 v48, v30, v125
	v_fma_f16 v137, 0x39a8, v18, v16
	v_fmac_f16_e64 v136, 0xb9a8, v18
	v_sub_f16_e32 v18, v36, v37
	v_fma_f16 v37, v40, 2.0, -v140
	v_fma_f16 v40, v12, 2.0, -v44
	v_sub_f16_e32 v12, v118, v120
	v_add_f16_e32 v32, v122, v32
	v_fma_f16 v28, v28, 2.0, -v42
	v_add_f16_e32 v34, v123, v34
	v_sub_f16_e32 v24, v21, v24
	v_sub_f16_e32 v26, v5, v26
	v_fma_f16 v30, v30, 2.0, -v48
	v_fmac_f16_e64 v137, 0x39a8, v117
	v_fma_f16 v13, v15, 2.0, -v135
	v_fma_f16 v15, v46, 2.0, -v141
	;; [unrolled: 1-line block ×8, first 2 shown]
	v_fmamk_f16 v118, v30, 0xb9a8, v28
	v_lshrrev_b32_e32 v126, 16, v20
	v_lshrrev_b32_e32 v127, 16, v22
	;; [unrolled: 1-line block ×8, first 2 shown]
	v_fmamk_f16 v119, v117, 0xb9a8, v49
	v_sub_f16_e32 v21, v19, v21
	v_sub_f16_e32 v120, v46, v5
	v_fmac_f16_e32 v118, 0xb9a8, v117
	v_sub_f16_e32 v26, v8, v26
	v_add_f16_e32 v24, v12, v24
	v_fmamk_f16 v117, v48, 0x39a8, v42
	v_sub_f16_e32 v5, v20, v29
	v_fmac_f16_e32 v119, 0x39a8, v30
	v_fma_f16 v30, v19, 2.0, -v21
	v_fmamk_f16 v121, v34, 0x39a8, v32
	v_fma_f16 v122, v8, 2.0, -v26
	v_fma_f16 v29, v12, 2.0, -v24
	v_fmac_f16_e32 v117, 0xb9a8, v34
	v_sub_f16_e64 v8, v126, v130
	v_fma_f16 v12, v20, 2.0, -v5
	v_sub_f16_e32 v19, v25, v33
	v_sub_f16_e64 v20, v128, v132
	v_sub_f16_e32 v31, v22, v31
	v_sub_f16_e64 v34, v127, v131
	;; [unrolled: 2-line block ×3, first 2 shown]
	v_fmac_f16_e32 v121, 0x39a8, v48
	v_fma_f16 v25, v25, 2.0, -v19
	v_fma_f16 v48, v128, 2.0, -v20
	;; [unrolled: 1-line block ×3, first 2 shown]
	v_sub_f16_e32 v20, v5, v20
	v_fma_f16 v125, v129, 2.0, -v124
	v_add_f16_e32 v19, v8, v19
	v_sub_f16_e32 v124, v31, v124
	v_add_f16_e32 v35, v34, v35
	v_fma_f16 v22, v22, 2.0, -v31
	v_fma_f16 v33, v126, 2.0, -v8
	;; [unrolled: 1-line block ×7, first 2 shown]
	v_sub_f16_e32 v25, v12, v25
	v_sub_f16_e32 v27, v22, v27
	;; [unrolled: 1-line block ×3, first 2 shown]
	v_fmamk_f16 v126, v31, 0xb9a8, v5
	v_fmamk_f16 v127, v34, 0xb9a8, v8
	v_fma_f16 v12, v12, 2.0, -v25
	v_fma_f16 v22, v22, 2.0, -v27
	v_sub_f16_e32 v125, v123, v125
	v_fmac_f16_e32 v126, 0xb9a8, v34
	v_fmac_f16_e32 v127, 0x39a8, v31
	v_fmamk_f16 v31, v124, 0x39a8, v20
	v_fmamk_f16 v34, v35, 0x39a8, v19
	v_fma_f16 v1, v1, 2.0, -v138
	v_fma_f16 v36, v36, 2.0, -v18
	v_fma_f16 v11, v11, 2.0, -v139
	v_sub_f16_e32 v22, v12, v22
	v_fma_f16 v2, v2, 2.0, -v43
	v_fma_f16 v116, v116, 2.0, -v136
	;; [unrolled: 1-line block ×3, first 2 shown]
	v_add_f16_e64 v130, v48, v27
	v_fmac_f16_e32 v31, 0xb9a8, v35
	v_fmac_f16_e32 v34, 0x39a8, v124
	v_fma_f16 v33, v33, 2.0, -v48
	v_fma_f16 v123, v123, 2.0, -v125
	;; [unrolled: 1-line block ×4, first 2 shown]
	v_pack_b32_f16 v8, v10, v13
	v_pack_b32_f16 v7, v6, v7
	;; [unrolled: 1-line block ×4, first 2 shown]
	v_fma_f16 v128, v12, 2.0, -v22
	v_pack_b32_f16 v12, v134, v135
	v_pack_b32_f16 v11, v39, v9
	;; [unrolled: 1-line block ×8, first 2 shown]
	v_fma_f16 v35, v48, 2.0, -v130
	v_fma_f16 v48, v20, 2.0, -v31
	;; [unrolled: 1-line block ×3, first 2 shown]
	v_pack_b32_f16 v20, v136, v137
	v_pack_b32_f16 v19, v47, v141
	;; [unrolled: 1-line block ×4, first 2 shown]
	v_sub_f16_e32 v123, v33, v123
	v_sub_f16_e32 v125, v25, v125
	ds_store_b128 v146, v[5:8]
	ds_store_b128 v146, v[9:12] offset:16
	ds_store_b128 v146, v[13:16] offset:16384
	;; [unrolled: 1-line block ×3, first 2 shown]
	v_and_b32_e32 v20, 7, v0
	v_fma_f16 v46, v46, 2.0, -v120
	v_fma_f16 v28, v28, 2.0, -v118
	;; [unrolled: 1-line block ×7, first 2 shown]
	v_mad_co_u64_u32 v[1:2], null, v20, 60, s[10:11]
	s_delay_alu instid0(VALU_DEP_4)
	v_pack_b32_f16 v8, v42, v32
	v_pack_b32_f16 v7, v122, v29
	;; [unrolled: 1-line block ×8, first 2 shown]
	v_lshlrev_b32_e32 v148, 5, v4
	v_pack_b32_f16 v12, v117, v121
	v_pack_b32_f16 v11, v26, v24
	;; [unrolled: 1-line block ×4, first 2 shown]
	v_lshlrev_b32_e32 v151, 5, v3
	v_pack_b32_f16 v27, v31, v34
	v_pack_b32_f16 v26, v125, v130
	v_pack_b32_f16 v25, v126, v127
	v_pack_b32_f16 v24, v22, v123
	ds_store_b128 v146, v[5:8] offset:32768
	ds_store_b128 v146, v[13:16] offset:49152
	;; [unrolled: 1-line block ×4, first 2 shown]
	global_wb scope:SCOPE_SE
	s_wait_dscnt 0x0
	s_barrier_signal -1
	s_barrier_wait -1
	global_inv scope:SCOPE_SE
	s_clause 0x3
	global_load_b128 v[13:16], v[1:2], off
	global_load_b128 v[9:12], v[1:2], off offset:16
	global_load_b128 v[5:8], v[1:2], off offset:32
	global_load_b96 v[17:19], v[1:2], off offset:48
	ds_load_2addr_stride64_b32 v[1:2], v52 offset1:8
	ds_load_2addr_stride64_b32 v[24:25], v52 offset0:16 offset1:24
	ds_load_2addr_stride64_b32 v[26:27], v52 offset0:32 offset1:40
	;; [unrolled: 1-line block ×15, first 2 shown]
	global_wb scope:SCOPE_SE
	s_wait_loadcnt_dscnt 0x0
	s_barrier_signal -1
	s_barrier_wait -1
	global_inv scope:SCOPE_SE
	v_lshrrev_b32_e32 v22, 16, v1
	v_lshrrev_b32_e32 v120, 16, v24
	;; [unrolled: 1-line block ×32, first 2 shown]
	v_lshlrev_b32_e32 v4, 2, v4
	v_lshrrev_b32_e32 v152, 16, v14
	v_lshrrev_b32_e32 v149, 16, v16
	;; [unrolled: 1-line block ×7, first 2 shown]
	v_mul_f16_e64 v171, v121, v152
	v_mul_f16_e64 v176, v30, v149
	;; [unrolled: 1-line block ×7, first 2 shown]
	v_lshrrev_b32_e32 v153, 16, v13
	v_lshrrev_b32_e32 v150, 16, v15
	;; [unrolled: 1-line block ×8, first 2 shown]
	v_mul_f16_e64 v172, v26, v152
	v_mul_f16_e64 v175, v123, v149
	;; [unrolled: 1-line block ×7, first 2 shown]
	v_fma_f16 v26, v26, v14, -v171
	v_fma_f16 v38, v38, v12, -v183
	v_fmac_f16_e64 v176, v123, v16
	v_fmac_f16_e64 v180, v125, v10
	;; [unrolled: 1-line block ×4, first 2 shown]
	v_fma_f16 v42, v42, v6, -v205
	v_mul_f16_e64 v169, v120, v153
	v_mul_f16_e64 v170, v24, v153
	;; [unrolled: 1-line block ×14, first 2 shown]
	v_fma_f16 v30, v30, v16, -v175
	v_fma_f16 v34, v34, v10, -v179
	v_fmac_f16_e64 v172, v121, v14
	v_fmac_f16_e64 v185, v128, v12
	;; [unrolled: 1-line block ×3, first 2 shown]
	v_fma_f16 v46, v46, v8, -v209
	v_fma_f16 v116, v116, v18, -v213
	v_sub_f16_e32 v38, v1, v38
	v_sub_f16_e64 v121, v176, v210
	v_sub_f16_e32 v42, v26, v42
	v_sub_f16_e64 v123, v180, v214
	v_mul_f16_e64 v177, v124, v147
	v_mul_f16_e64 v211, v133, v136
	v_fma_f16 v24, v24, v13, -v169
	v_fma_f16 v28, v28, v15, -v173
	;; [unrolled: 1-line block ×4, first 2 shown]
	v_fmac_f16_e64 v170, v120, v13
	v_fmac_f16_e64 v174, v122, v15
	;; [unrolled: 1-line block ×8, first 2 shown]
	v_fma_f16 v44, v44, v7, -v207
	v_fma_f16 v118, v118, v19, -v215
	v_sub_f16_e64 v120, v22, v185
	v_sub_f16_e32 v46, v30, v46
	v_sub_f16_e64 v122, v172, v206
	v_sub_f16_e32 v116, v34, v116
	v_fma_f16 v124, v176, 2.0, -v121
	v_fma_f16 v128, v180, 2.0, -v123
	v_sub_f16_e32 v121, v38, v121
	v_sub_f16_e32 v123, v42, v123
	v_mul_f16_e64 v188, v25, v153
	v_fma_f16 v32, v32, v9, -v177
	v_fma_f16 v48, v48, v17, -v211
	v_sub_f16_e32 v40, v24, v40
	v_fma_f16 v1, v1, 2.0, -v38
	v_fma_f16 v30, v30, 2.0, -v46
	;; [unrolled: 1-line block ×3, first 2 shown]
	v_sub_f16_e64 v126, v170, v203
	v_fma_f16 v34, v34, 2.0, -v116
	v_sub_f16_e64 v130, v178, v212
	v_sub_f16_e32 v44, v28, v44
	v_sub_f16_e64 v131, v174, v208
	v_sub_f16_e32 v118, v36, v118
	v_sub_f16_e64 v133, v182, v216
	v_add_f16_e32 v46, v120, v46
	v_fma_f16 v38, v38, 2.0, -v121
	v_add_f16_e32 v116, v122, v116
	v_fma_f16 v42, v42, 2.0, -v123
	v_mul_f16_e64 v184, v138, v153
	v_mul_f16_e64 v190, v27, v152
	v_fmac_f16_e64 v188, v138, v13
	v_fma_f16 v22, v22, 2.0, -v120
	v_fma_f16 v125, v172, 2.0, -v122
	v_sub_f16_e32 v48, v32, v48
	v_fma_f16 v129, v170, 2.0, -v126
	v_fma_f16 v132, v178, 2.0, -v130
	;; [unrolled: 1-line block ×7, first 2 shown]
	v_sub_f16_e64 v130, v40, v130
	v_sub_f16_e64 v133, v44, v133
	v_add_f16_e64 v118, v131, v118
	v_fma_f16 v138, 0xb9a8, v42, v38
	v_mul_f16_e64 v187, v155, v152
	v_fmac_f16_e64 v190, v155, v14
	v_fma_f16 v24, v24, 2.0, -v40
	v_fma_f16 v32, v32, 2.0, -v48
	;; [unrolled: 1-line block ×3, first 2 shown]
	v_sub_f16_e32 v124, v22, v124
	v_sub_f16_e32 v34, v26, v34
	v_sub_f16_e64 v132, v129, v132
	v_add_f16_e32 v48, v126, v48
	v_sub_f16_e64 v137, v134, v137
	v_fma_f16 v40, v40, 2.0, -v130
	v_fma_f16 v44, v44, 2.0, -v133
	v_fma_f16 v155, 0xb9a8, v122, v120
	v_fmac_f16_e64 v138, 0xb9a8, v122
	v_fma_f16 v122, v131, 2.0, -v118
	v_fma_f16 v131, 0x39a8, v116, v46
	v_fma_f16 v26, v26, 2.0, -v34
	v_fma_f16 v129, v129, 2.0, -v132
	;; [unrolled: 1-line block ×4, first 2 shown]
	v_fmac_f16_e64 v155, 0x39a8, v42
	v_fmamk_f16 v42, v123, 0x39a8, v121
	v_add_f16_e32 v34, v124, v34
	v_fmac_f16_e64 v131, 0x39a8, v123
	v_fmamk_f16 v123, v44, 0xb9a8, v40
	v_sub_f16_e32 v30, v1, v30
	v_fma_f16 v22, v22, 2.0, -v124
	v_sub_f16_e64 v128, v125, v128
	v_sub_f16_e32 v32, v24, v32
	v_sub_f16_e32 v36, v28, v36
	v_fmac_f16_e32 v42, 0xb9a8, v116
	v_fma_f16 v116, v124, 2.0, -v34
	v_sub_f16_e64 v124, v129, v134
	v_fma_f16 v134, 0xb9a8, v122, v126
	v_fmac_f16_e32 v123, 0xb9a8, v122
	v_fma_f16 v125, v125, 2.0, -v128
	v_fma_f16 v28, v28, 2.0, -v36
	;; [unrolled: 1-line block ×3, first 2 shown]
	v_sub_f16_e64 v128, v30, v128
	v_fma_f16 v122, v129, 2.0, -v124
	v_fmac_f16_e64 v134, 0x39a8, v44
	v_fma_f16 v40, v40, 2.0, -v123
	v_fma_f16 v44, 0x39a8, v133, v130
	v_sub_f16_e64 v129, v32, v137
	v_add_f16_e64 v36, v132, v36
	v_fma_f16 v137, 0x39a8, v118, v48
	v_fma_f16 v1, v1, 2.0, -v30
	v_fma_f16 v24, v24, 2.0, -v32
	v_fma_f16 v120, v120, 2.0, -v155
	v_fma_f16 v30, v30, 2.0, -v128
	v_fma_f16 v126, v126, 2.0, -v134
	v_fmac_f16_e32 v44, 0xb9a8, v118
	v_fma_f16 v32, v32, 2.0, -v129
	v_fma_f16 v118, v132, 2.0, -v36
	v_fmac_f16_e64 v137, 0x39a8, v133
	v_fma_f16 v132, 0xbb64, v40, v38
	v_mul_f16_e64 v192, v29, v150
	v_fma_f16 v121, v121, 2.0, -v42
	v_fma_f16 v46, v46, 2.0, -v131
	;; [unrolled: 1-line block ×4, first 2 shown]
	v_fma_f16 v133, 0xbb64, v126, v120
	v_fmac_f16_e64 v132, 0xb61f, v126
	v_fmamk_f16 v126, v32, 0xb9a8, v30
	v_mul_f16_e64 v189, v156, v150
	v_fmac_f16_e64 v192, v156, v15
	v_fma_f16 v156, 0xb9a8, v118, v116
	v_fmac_f16_e64 v133, 0x361f, v40
	v_fma_f16 v40, 0xb61f, v130, v121
	v_fmac_f16_e32 v126, 0xb9a8, v118
	v_fmamk_f16 v118, v48, 0xb61f, v46
	v_mul_f16_e64 v194, v31, v149
	v_mul_f16_e64 v196, v33, v147
	v_sub_f16_e32 v26, v1, v26
	v_fmac_f16_e32 v40, 0xbb64, v48
	v_fmac_f16_e64 v118, 0x3b64, v130
	v_fma_f16 v130, 0x361f, v134, v155
	v_mul_f16_e64 v191, v157, v149
	v_mul_f16_e64 v193, v158, v147
	;; [unrolled: 1-line block ×12, first 2 shown]
	v_fmac_f16_e64 v194, v157, v16
	v_fmac_f16_e64 v196, v158, v9
	v_fma_f16 v48, v120, 2.0, -v133
	v_fma_f16 v120, v121, 2.0, -v40
	v_sub_f16_e32 v121, v26, v124
	v_fma_f16 v124, 0x361f, v123, v138
	v_fmac_f16_e64 v130, 0x3b64, v123
	v_fma_f16 v123, 0x39a8, v129, v128
	v_fma_f16 v157, 0x3b64, v44, v42
	;; [unrolled: 1-line block ×3, first 2 shown]
	v_mul_f16_e64 v200, v37, v144
	v_mul_f16_e64 v204, v41, v142
	;; [unrolled: 1-line block ×5, first 2 shown]
	v_fma_f16 v27, v27, v14, -v187
	v_fma_f16 v31, v31, v16, -v191
	;; [unrolled: 1-line block ×4, first 2 shown]
	v_fmac_f16_e64 v198, v159, v10
	v_fmac_f16_e64 v202, v161, v12
	v_fma_f16 v43, v43, v6, -v217
	v_fmac_f16_e64 v218, v163, v6
	v_fma_f16 v47, v47, v8, -v221
	;; [unrolled: 2-line block ×3, first 2 shown]
	v_fmac_f16_e64 v226, v167, v18
	v_fmac_f16_e64 v124, 0xbb64, v134
	v_fma_f16 v134, 0x39a8, v36, v34
	v_fmac_f16_e32 v123, 0xb9a8, v36
	v_fmac_f16_e64 v157, 0xb61f, v137
	v_fmac_f16_e64 v158, 0x361f, v44
	v_mul_f16_e64 v197, v160, v144
	v_mul_f16_e64 v201, v162, v142
	;; [unrolled: 1-line block ×5, first 2 shown]
	v_fmac_f16_e64 v200, v160, v11
	v_fmac_f16_e64 v204, v162, v5
	;; [unrolled: 1-line block ×7, first 2 shown]
	v_fma_f16 v36, v155, 2.0, -v130
	v_fma_f16 v44, v128, 2.0, -v123
	v_sub_f16_e32 v32, v2, v39
	v_fma_f16 v39, v42, 2.0, -v157
	v_fma_f16 v42, v131, 2.0, -v158
	v_sub_f16_e64 v128, v21, v202
	v_sub_f16_e32 v47, v31, v47
	v_sub_f16_e64 v129, v194, v222
	v_sub_f16_e32 v43, v27, v43
	;; [unrolled: 2-line block ×3, first 2 shown]
	v_sub_f16_e64 v155, v198, v226
	v_fma_f16 v25, v25, v13, -v184
	v_fma_f16 v29, v29, v15, -v189
	;; [unrolled: 1-line block ×8, first 2 shown]
	v_fma_f16 v31, v31, 2.0, -v47
	v_fma_f16 v137, v194, 2.0, -v129
	v_sub_f16_e64 v160, v188, v204
	v_fma_f16 v35, v35, 2.0, -v117
	v_fma_f16 v161, v198, 2.0, -v155
	v_sub_f16_e64 v163, v196, v224
	v_sub_f16_e64 v164, v192, v220
	;; [unrolled: 1-line block ×4, first 2 shown]
	v_add_f16_e64 v47, v128, v47
	v_sub_f16_e64 v155, v43, v155
	v_add_f16_e64 v117, v131, v117
	v_fma_f16 v2, v2, 2.0, -v32
	v_fma_f16 v21, v21, 2.0, -v128
	;; [unrolled: 1-line block ×4, first 2 shown]
	v_sub_f16_e32 v41, v25, v41
	v_sub_f16_e32 v49, v33, v49
	v_fma_f16 v162, v188, 2.0, -v160
	v_sub_f16_e32 v45, v29, v45
	v_sub_f16_e32 v119, v37, v119
	v_fma_f16 v165, v196, 2.0, -v163
	v_fma_f16 v167, v192, 2.0, -v164
	;; [unrolled: 1-line block ×9, first 2 shown]
	v_sub_f16_e64 v137, v21, v137
	v_sub_f16_e32 v35, v27, v35
	v_sub_f16_e64 v165, v162, v165
	v_sub_f16_e64 v163, v41, v163
	v_add_f16_e64 v49, v160, v49
	v_sub_f16_e64 v168, v167, v168
	v_sub_f16_e64 v166, v45, v166
	v_add_f16_e64 v119, v164, v119
	v_fma_f16 v169, 0xb9a8, v43, v32
	v_fma_f16 v170, 0xb9a8, v131, v128
	v_fma_f16 v25, v25, 2.0, -v41
	v_fma_f16 v29, v29, 2.0, -v45
	v_fma_f16 v27, v27, 2.0, -v35
	v_fma_f16 v162, v162, 2.0, -v165
	v_fma_f16 v41, v41, 2.0, -v163
	v_fma_f16 v160, v160, 2.0, -v49
	v_fma_f16 v167, v167, 2.0, -v168
	v_fma_f16 v45, v45, 2.0, -v166
	v_fmac_f16_e64 v169, 0xb9a8, v131
	v_fma_f16 v131, v164, 2.0, -v119
	v_fmac_f16_e64 v170, 0x39a8, v43
	v_fma_f16 v43, 0x39a8, v155, v129
	v_add_f16_e64 v35, v137, v35
	v_fma_f16 v164, 0x39a8, v117, v47
	v_fma_f16 v21, v21, 2.0, -v137
	v_sub_f16_e32 v37, v29, v37
	v_fmac_f16_e32 v43, 0xb9a8, v117
	v_fma_f16 v117, v137, 2.0, -v35
	v_fmac_f16_e64 v164, 0x39a8, v155
	v_fma_f16 v137, 0xb9a8, v45, v41
	v_sub_f16_e64 v155, v162, v167
	v_fma_f16 v167, 0xb9a8, v131, v160
	v_sub_f16_e32 v33, v25, v33
	v_fma_f16 v29, v29, 2.0, -v37
	v_fmac_f16_e64 v137, 0xb9a8, v131
	v_add_f16_e64 v37, v165, v37
	v_fmac_f16_e64 v167, 0x39a8, v45
	v_fma_f16 v45, 0x39a8, v166, v163
	v_sub_f16_e32 v31, v2, v31
	v_sub_f16_e64 v161, v159, v161
	v_fma_f16 v32, v32, 2.0, -v169
	v_fma_f16 v131, v162, 2.0, -v155
	;; [unrolled: 1-line block ×3, first 2 shown]
	v_sub_f16_e64 v162, v33, v168
	v_fma_f16 v168, 0x39a8, v119, v49
	v_fmac_f16_e32 v45, 0xb9a8, v119
	v_fma_f16 v119, v165, 2.0, -v37
	v_sub_f16_e32 v125, v22, v125
	v_sub_f16_e32 v28, v24, v28
	v_fma_f16 v159, v159, 2.0, -v161
	v_sub_f16_e64 v161, v31, v161
	v_fma_f16 v128, v128, 2.0, -v170
	v_fma_f16 v129, v129, 2.0, -v43
	v_fma_f16 v160, v160, 2.0, -v167
	v_fmac_f16_e64 v168, 0x39a8, v166
	v_fma_f16 v163, v163, 2.0, -v45
	v_fma_f16 v165, 0xbb64, v41, v32
	v_fma_f16 v25, v25, 2.0, -v33
	v_fma_f16 v33, v33, 2.0, -v162
	v_fma_f16 v171, 0xb9a8, v119, v117
	v_fma_f16 v1, v1, 2.0, -v26
	v_fma_f16 v22, v22, 2.0, -v125
	;; [unrolled: 1-line block ×6, first 2 shown]
	v_fma_f16 v166, 0xbb64, v160, v128
	v_fmac_f16_e64 v165, 0xb61f, v160
	v_fma_f16 v172, 0xb61f, v163, v129
	v_fma_f16 v47, v47, 2.0, -v164
	v_fmac_f16_e64 v171, 0x39a8, v33
	v_sub_f16_e32 v24, v1, v24
	v_sub_f16_e32 v122, v22, v122
	;; [unrolled: 1-line block ×3, first 2 shown]
	v_fma_f16 v160, 0xb9a8, v33, v31
	v_fmac_f16_e64 v166, 0x361f, v41
	v_fma_f16 v41, v32, 2.0, -v165
	v_fmac_f16_e64 v172, 0xbb64, v49
	v_fma_f16 v174, 0x3b64, v168, v164
	v_lshlrev_b32_e32 v32, 4, v0
	v_add_f16_e32 v28, v125, v28
	v_fmamk_f16 v33, v49, 0xb61f, v47
	v_fma_f16 v49, v117, 2.0, -v171
	v_fma_f16 v117, 0x361f, v137, v169
	v_fma_f16 v1, v1, 2.0, -v24
	v_fma_f16 v22, v22, 2.0, -v122
	;; [unrolled: 1-line block ×3, first 2 shown]
	v_sub_f16_e64 v159, v21, v159
	v_sub_f16_e32 v29, v25, v29
	v_fmac_f16_e64 v160, 0xb9a8, v119
	v_fma_f16 v119, v128, 2.0, -v166
	v_fma_f16 v128, v129, 2.0, -v172
	v_sub_f16_e64 v129, v27, v155
	v_fma_f16 v155, 0x361f, v167, v170
	v_fma_f16 v173, 0x3b64, v45, v43
	v_fmac_f16_e64 v174, 0x361f, v45
	v_and_or_b32 v45, 0x1f80, v32, v20
	v_fma_f16 v30, v30, 2.0, -v126
	v_fma_f16 v116, v116, 2.0, -v156
	;; [unrolled: 1-line block ×7, first 2 shown]
	v_fmac_f16_e64 v117, 0xbb64, v167
	v_fma_f16 v2, v2, 2.0, -v27
	v_fma_f16 v21, v21, 2.0, -v159
	;; [unrolled: 1-line block ×3, first 2 shown]
	v_fmac_f16_e64 v155, 0x3b64, v137
	v_lshlrev_b32_e32 v137, 2, v45
	v_pack_b32_f16 v1, v1, v22
	v_pack_b32_f16 v22, v38, v48
	;; [unrolled: 1-line block ×6, first 2 shown]
	v_fmac_f16_e64 v33, 0x3b64, v163
	v_fma_f16 v163, v169, 2.0, -v117
	v_fma_f16 v167, 0x39a8, v162, v161
	v_fma_f16 v169, 0x39a8, v37, v35
	v_pack_b32_f16 v34, v44, v34
	v_pack_b32_f16 v39, v39, v42
	v_sub_f16_e32 v25, v2, v25
	v_sub_f16_e64 v131, v21, v131
	ds_store_2addr_b32 v137, v1, v22 offset1:8
	ds_store_2addr_b32 v137, v30, v38 offset0:16 offset1:24
	ds_store_2addr_b32 v137, v26, v36 offset0:32 offset1:40
	;; [unrolled: 1-line block ×3, first 2 shown]
	v_lshlrev_b32_e32 v30, 4, v23
	v_add_f16_e64 v29, v159, v29
	v_fmac_f16_e64 v167, 0xb9a8, v37
	v_fmac_f16_e64 v169, 0x39a8, v162
	v_fmac_f16_e64 v173, 0xb61f, v168
	v_fma_f16 v2, v2, 2.0, -v25
	v_fma_f16 v21, v21, 2.0, -v131
	v_pack_b32_f16 v1, v24, v122
	v_pack_b32_f16 v22, v132, v133
	v_and_or_b32 v20, 0x3f80, v30, v20
	v_fma_f16 v31, v31, 2.0, -v160
	v_fma_f16 v47, v47, 2.0, -v33
	v_pack_b32_f16 v24, v126, v156
	v_pack_b32_f16 v26, v40, v118
	v_fma_f16 v27, v27, 2.0, -v129
	v_fma_f16 v159, v159, 2.0, -v29
	;; [unrolled: 1-line block ×3, first 2 shown]
	v_pack_b32_f16 v28, v121, v28
	v_pack_b32_f16 v34, v124, v130
	v_fma_f16 v37, v161, 2.0, -v167
	v_fma_f16 v35, v35, 2.0, -v169
	;; [unrolled: 1-line block ×4, first 2 shown]
	v_pack_b32_f16 v36, v123, v134
	v_pack_b32_f16 v38, v157, v158
	ds_store_2addr_b32 v137, v1, v22 offset0:64 offset1:72
	ds_store_2addr_b32 v137, v24, v26 offset0:80 offset1:88
	;; [unrolled: 1-line block ×4, first 2 shown]
	v_lshlrev_b32_e32 v138, 2, v20
	v_pack_b32_f16 v1, v2, v21
	v_pack_b32_f16 v2, v41, v119
	;; [unrolled: 1-line block ×10, first 2 shown]
	ds_store_2addr_b32 v138, v1, v2 offset1:8
	ds_store_2addr_b32 v138, v20, v21 offset0:16 offset1:24
	ds_store_2addr_b32 v138, v22, v24 offset0:32 offset1:40
	;; [unrolled: 1-line block ×4, first 2 shown]
	v_and_b32_e32 v1, 0x7f, v0
	v_pack_b32_f16 v2, v160, v171
	v_pack_b32_f16 v22, v172, v33
	;; [unrolled: 1-line block ×4, first 2 shown]
	v_mad_co_u64_u32 v[20:21], null, v1, 12, s[10:11]
	v_pack_b32_f16 v26, v167, v169
	v_pack_b32_f16 v27, v173, v174
	ds_store_2addr_b32 v138, v2, v22 offset0:80 offset1:88
	ds_store_2addr_b32 v138, v24, v25 offset0:96 offset1:104
	;; [unrolled: 1-line block ×3, first 2 shown]
	global_wb scope:SCOPE_SE
	s_wait_dscnt 0x0
	s_barrier_signal -1
	s_barrier_wait -1
	global_inv scope:SCOPE_SE
	global_load_b96 v[20:22], v[20:21], off offset:480
	ds_load_2addr_stride64_b32 v[24:25], v52 offset1:8
	ds_load_2addr_stride64_b32 v[26:27], v52 offset0:64 offset1:72
	ds_load_2addr_stride64_b32 v[28:29], v52 offset0:128 offset1:136
	;; [unrolled: 1-line block ×15, first 2 shown]
	global_wb scope:SCOPE_SE
	s_wait_loadcnt_dscnt 0x0
	s_barrier_signal -1
	s_barrier_wait -1
	global_inv scope:SCOPE_SE
	v_lshlrev_b32_e32 v23, 2, v23
	s_delay_alu instid0(VALU_DEP_1)
	v_and_or_b32 v23, 0xe00, v23, v1
	v_lshrrev_b32_e32 v2, 16, v24
	v_lshrrev_b32_e32 v49, 16, v26
	;; [unrolled: 1-line block ×35, first 2 shown]
	s_delay_alu instid0(VALU_DEP_3) | instskip(SKIP_1) | instid1(VALU_DEP_4)
	v_mul_f16_e64 v178, v49, v134
	v_mul_f16_e64 v179, v26, v134
	;; [unrolled: 1-line block ×5, first 2 shown]
	v_fma_f16 v26, v26, v20, -v178
	v_fmac_f16_e64 v179, v49, v20
	v_fma_f16 v28, v28, v21, -v180
	v_fmac_f16_e64 v181, v122, v21
	v_mul_f16_e32 v49, v126, v123
	v_mul_f16_e32 v122, v30, v123
	v_mul_f16_e64 v178, v130, v134
	v_mul_f16_e64 v180, v27, v134
	v_sub_f16_e32 v28, v24, v28
	v_fma_f16 v30, v30, v22, -v49
	v_fmac_f16_e32 v122, v126, v22
	v_fma_f16 v27, v27, v20, -v178
	v_fmac_f16_e64 v180, v130, v20
	v_fma_f16 v49, v29, v21, -v182
	v_mul_f16_e64 v126, v132, v123
	v_mul_f16_e64 v130, v31, v123
	;; [unrolled: 1-line block ×5, first 2 shown]
	v_fma_f16 v31, v31, v22, -v126
	v_fmac_f16_e64 v130, v132, v22
	v_fma_f16 v35, v35, v20, -v178
	v_fmac_f16_e64 v182, v155, v20
	v_mul_f16_e64 v126, v156, v129
	v_mul_f16_e64 v132, v157, v123
	;; [unrolled: 1-line block ×4, first 2 shown]
	v_fmac_f16_e64 v29, v131, v21
	v_mul_f16_e64 v131, v37, v129
	v_fma_f16 v37, v37, v21, -v126
	v_fma_f16 v39, v39, v22, -v132
	v_fmac_f16_e64 v155, v157, v22
	v_fma_f16 v126, v36, v20, -v178
	v_mul_f16_e64 v132, v160, v129
	v_mul_f16_e64 v157, v161, v123
	;; [unrolled: 1-line block ×3, first 2 shown]
	v_fmac_f16_e64 v131, v156, v21
	v_mul_f16_e64 v36, v36, v134
	v_mul_f16_e64 v156, v38, v129
	v_fma_f16 v38, v38, v21, -v132
	v_fma_f16 v40, v40, v22, -v157
	v_fmac_f16_e64 v178, v161, v22
	v_mul_f16_e64 v132, v163, v134
	v_mul_f16_e64 v157, v43, v134
	v_mul_f16_e64 v161, v165, v123
	v_fmac_f16_e64 v36, v159, v20
	v_fmac_f16_e64 v156, v160, v21
	v_mul_f16_e64 v159, v164, v129
	v_mul_f16_e64 v160, v45, v129
	v_fma_f16 v43, v43, v20, -v132
	v_fmac_f16_e64 v157, v163, v20
	v_fma_f16 v132, v47, v22, -v161
	v_mul_f16_e64 v161, v44, v134
	v_mul_f16_e64 v163, v168, v129
	v_fma_f16 v45, v45, v21, -v159
	v_fmac_f16_e64 v160, v164, v21
	v_mul_f16_e32 v47, v47, v123
	v_mul_f16_e64 v159, v167, v134
	v_mul_f16_e64 v164, v46, v129
	v_fmac_f16_e64 v161, v167, v20
	v_fma_f16 v46, v46, v21, -v163
	v_mul_f16_e64 v163, v48, v123
	v_mul_f16_e64 v167, v118, v134
	v_fmac_f16_e64 v47, v165, v22
	v_fma_f16 v44, v44, v20, -v159
	v_fmac_f16_e64 v164, v168, v21
	v_mul_f16_e64 v159, v169, v123
	v_mul_f16_e64 v165, v171, v134
	;; [unrolled: 1-line block ×3, first 2 shown]
	v_fmac_f16_e64 v163, v169, v22
	v_fmac_f16_e64 v167, v171, v20
	v_mul_f16_e64 v169, v175, v134
	v_mul_f16_e64 v171, v119, v134
	v_sub_f16_e32 v38, v34, v38
	v_sub_f16_e32 v40, v126, v40
	v_fma_f16 v48, v48, v22, -v159
	v_fma_f16 v118, v118, v20, -v165
	;; [unrolled: 1-line block ×3, first 2 shown]
	v_mul_f16_e64 v120, v120, v129
	v_mul_f16_e64 v165, v173, v123
	;; [unrolled: 1-line block ×3, first 2 shown]
	v_fma_f16 v119, v119, v20, -v169
	v_fmac_f16_e64 v171, v175, v20
	v_sub_f16_e64 v169, v2, v181
	v_sub_f16_e32 v30, v26, v30
	v_sub_f16_e64 v122, v179, v122
	v_mul_f16_e64 v175, v125, v123
	v_fma_f16 v34, v34, 2.0, -v38
	v_fma_f16 v126, v126, 2.0, -v40
	v_fmac_f16_e64 v120, v172, v21
	v_fma_f16 v124, v124, v22, -v165
	v_fmac_f16_e64 v168, v173, v22
	v_fma_f16 v24, v24, 2.0, -v28
	v_fma_f16 v2, v2, 2.0, -v169
	v_fma_f16 v26, v26, 2.0, -v30
	v_fma_f16 v172, v179, 2.0, -v122
	v_mul_f16_e64 v173, v177, v123
	v_fmac_f16_e64 v175, v177, v22
	v_sub_f16_e64 v177, v36, v178
	v_sub_f16_e64 v178, v34, v126
	;; [unrolled: 1-line block ×6, first 2 shown]
	v_sub_f16_e32 v26, v24, v26
	v_sub_f16_e64 v172, v2, v172
	v_sub_f16_e32 v122, v28, v122
	v_add_f16_e64 v30, v169, v30
	v_fma_f16 v43, v43, 2.0, -v132
	v_add_f16_e64 v132, v126, v132
	v_fma_f16 v166, v166, 2.0, -v164
	v_fma_f16 v161, v161, 2.0, -v163
	v_sub_f16_e32 v124, v118, v124
	v_sub_f16_e64 v120, v170, v120
	v_fma_f16 v24, v24, 2.0, -v26
	v_fma_f16 v2, v2, 2.0, -v172
	;; [unrolled: 1-line block ×6, first 2 shown]
	v_sub_f16_e64 v162, v38, v177
	v_fma_f16 v177, v126, 2.0, -v132
	v_sub_f16_e64 v126, v116, v159
	v_sub_f16_e64 v159, v166, v161
	;; [unrolled: 1-line block ×3, first 2 shown]
	v_fma_f16 v118, v118, 2.0, -v124
	v_fma_f16 v168, v170, 2.0, -v120
	v_sub_f16_e64 v170, v171, v175
	v_add_f16_e64 v175, v120, v124
	v_and_or_b32 v124, 0x600, v52, v1
	v_mul_f16_e64 v165, v176, v129
	v_sub_f16_e32 v49, v25, v49
	v_sub_f16_e32 v31, v27, v31
	v_sub_f16_e64 v29, v128, v29
	v_sub_f16_e64 v130, v180, v130
	v_lshlrev_b32_e32 v124, 2, v124
	v_pack_b32_f16 v2, v24, v2
	v_pack_b32_f16 v24, v28, v169
	v_fma_f16 v165, v121, v21, -v165
	v_mul_f16_e64 v121, v121, v129
	v_fma_f16 v125, v125, v22, -v173
	v_fma_f16 v25, v25, 2.0, -v49
	v_fma_f16 v27, v27, 2.0, -v31
	v_fma_f16 v128, v128, 2.0, -v29
	v_fma_f16 v173, v180, 2.0, -v130
	v_sub_f16_e32 v37, v33, v37
	v_sub_f16_e64 v131, v133, v131
	v_sub_f16_e32 v39, v35, v39
	v_sub_f16_e64 v155, v182, v155
	v_sub_f16_e64 v156, v158, v156
	v_fma_f16 v167, v167, 2.0, -v161
	v_sub_f16_e64 v161, v126, v161
	ds_store_2addr_stride64_b32 v124, v2, v24 offset1:2
	v_and_or_b32 v2, 0x1600, v4, v1
	v_fmac_f16_e64 v121, v176, v21
	v_sub_f16_e32 v27, v25, v27
	v_sub_f16_e64 v173, v128, v173
	v_fma_f16 v33, v33, 2.0, -v37
	v_fma_f16 v133, v133, 2.0, -v131
	;; [unrolled: 1-line block ×4, first 2 shown]
	v_sub_f16_e64 v130, v49, v130
	v_add_f16_e32 v31, v29, v31
	v_fma_f16 v158, v158, 2.0, -v156
	v_fma_f16 v116, v116, 2.0, -v126
	;; [unrolled: 1-line block ×3, first 2 shown]
	v_lshlrev_b32_e32 v126, 2, v2
	v_lshlrev_b32_e32 v2, 2, v3
	v_fma_f16 v25, v25, 2.0, -v27
	v_sub_f16_e32 v35, v33, v35
	v_sub_f16_e64 v176, v133, v176
	v_fma_f16 v128, v128, 2.0, -v173
	v_fma_f16 v49, v49, 2.0, -v130
	;; [unrolled: 1-line block ×3, first 2 shown]
	v_sub_f16_e64 v155, v37, v155
	v_add_f16_e64 v39, v131, v39
	v_sub_f16_e64 v121, v174, v121
	v_sub_f16_e32 v125, v119, v125
	v_sub_f16_e64 v36, v158, v36
	v_add_f16_e64 v40, v156, v40
	v_pack_b32_f16 v26, v26, v172
	v_pack_b32_f16 v28, v122, v30
	;; [unrolled: 1-line block ×3, first 2 shown]
	v_and_or_b32 v2, 0x1e00, v2, v1
	v_or_b32_e32 v27, 0x2000, v52
	v_fma_f16 v33, v33, 2.0, -v35
	v_fma_f16 v133, v133, 2.0, -v176
	;; [unrolled: 1-line block ×4, first 2 shown]
	v_sub_f16_e32 v45, v41, v45
	v_sub_f16_e64 v47, v157, v47
	v_fma_f16 v119, v119, 2.0, -v125
	v_add_f16_e64 v180, v121, v125
	v_lshlrev_b32_e32 v125, 2, v23
	v_pack_b32_f16 v23, v25, v128
	v_pack_b32_f16 v25, v49, v29
	v_fma_f16 v34, v34, 2.0, -v178
	v_fma_f16 v158, v158, 2.0, -v36
	v_fma_f16 v38, v38, 2.0, -v162
	v_fma_f16 v156, v156, 2.0, -v40
	ds_store_2addr_stride64_b32 v124, v26, v28 offset0:4 offset1:6
	ds_store_2addr_stride64_b32 v125, v23, v25 offset1:2
	v_pack_b32_f16 v23, v130, v31
	v_lshlrev_b32_e32 v128, 2, v2
	v_and_or_b32 v2, 0x2600, v27, v1
	v_fma_f16 v41, v41, 2.0, -v45
	v_fma_f16 v157, v157, 2.0, -v47
	v_pack_b32_f16 v3, v33, v133
	v_pack_b32_f16 v24, v37, v131
	v_sub_f16_e32 v46, v42, v46
	v_sub_f16_e32 v48, v44, v48
	v_pack_b32_f16 v25, v35, v176
	v_pack_b32_f16 v26, v155, v39
	ds_store_2addr_stride64_b32 v125, v4, v23 offset0:4 offset1:6
	ds_store_2addr_stride64_b32 v126, v3, v24 offset1:2
	ds_store_2addr_stride64_b32 v126, v25, v26 offset0:4 offset1:6
	v_pack_b32_f16 v3, v34, v158
	v_pack_b32_f16 v4, v38, v156
	v_lshlrev_b32_e32 v130, 2, v2
	v_or_b32_e32 v2, 0x2800, v52
	v_sub_f16_e32 v43, v41, v43
	v_sub_f16_e64 v157, v160, v157
	v_sub_f16_e32 v47, v45, v47
	v_pack_b32_f16 v23, v178, v36
	v_pack_b32_f16 v24, v162, v40
	v_fma_f16 v42, v42, 2.0, -v46
	v_fma_f16 v44, v44, 2.0, -v48
	v_sub_f16_e64 v165, v117, v165
	ds_store_2addr_stride64_b32 v128, v3, v4 offset1:2
	ds_store_2addr_stride64_b32 v128, v23, v24 offset0:4 offset1:6
	v_and_or_b32 v2, 0x2e00, v2, v1
	v_or_b32_e32 v3, 0x3000, v52
	v_fma_f16 v41, v41, 2.0, -v43
	v_fma_f16 v160, v160, 2.0, -v157
	;; [unrolled: 1-line block ×3, first 2 shown]
	v_sub_f16_e32 v44, v42, v44
	v_sub_f16_e64 v163, v46, v163
	v_add_f16_e64 v48, v164, v48
	v_sub_f16_e32 v118, v116, v118
	v_sub_f16_e64 v167, v168, v167
	v_fma_f16 v117, v117, 2.0, -v165
	v_fma_f16 v174, v174, 2.0, -v121
	v_fma_f16 v171, v171, 2.0, -v170
	v_lshlrev_b32_e32 v131, 2, v2
	v_and_or_b32 v2, 0x3600, v3, v1
	v_pack_b32_f16 v25, v41, v160
	v_pack_b32_f16 v26, v45, v177
	v_fma_f16 v42, v42, 2.0, -v44
	v_fma_f16 v166, v166, 2.0, -v159
	;; [unrolled: 1-line block ×7, first 2 shown]
	v_sub_f16_e32 v119, v117, v119
	v_sub_f16_e64 v171, v174, v171
	v_sub_f16_e64 v170, v165, v170
	v_pack_b32_f16 v23, v47, v132
	v_lshlrev_b32_e32 v132, 2, v2
	v_or_b32_e32 v2, 0x3800, v52
	ds_store_2addr_stride64_b32 v130, v25, v26 offset1:2
	v_pack_b32_f16 v4, v43, v157
	v_pack_b32_f16 v25, v44, v159
	;; [unrolled: 1-line block ×7, first 2 shown]
	v_fma_f16 v117, v117, 2.0, -v119
	v_fma_f16 v174, v174, 2.0, -v171
	;; [unrolled: 1-line block ×4, first 2 shown]
	v_and_or_b32 v1, 0x3e00, v2, v1
	ds_store_2addr_stride64_b32 v130, v4, v23 offset0:4 offset1:6
	ds_store_2addr_stride64_b32 v131, v3, v24 offset1:2
	ds_store_2addr_stride64_b32 v131, v25, v26 offset0:4 offset1:6
	ds_store_2addr_stride64_b32 v132, v27, v28 offset1:2
	v_mad_co_u64_u32 v[26:27], null, v0, 28, s[10:11]
	v_pack_b32_f16 v2, v118, v167
	v_pack_b32_f16 v3, v161, v175
	v_lshlrev_b32_e32 v133, 2, v1
	v_pack_b32_f16 v1, v117, v174
	v_pack_b32_f16 v4, v165, v121
	;; [unrolled: 1-line block ×4, first 2 shown]
	ds_store_2addr_stride64_b32 v132, v2, v3 offset0:4 offset1:6
	ds_store_2addr_stride64_b32 v133, v1, v4 offset1:2
	ds_store_2addr_stride64_b32 v133, v23, v24 offset0:4 offset1:6
	global_wb scope:SCOPE_SE
	s_wait_dscnt 0x0
	s_barrier_signal -1
	s_barrier_wait -1
	global_inv scope:SCOPE_SE
	s_clause 0x1
	global_load_b128 v[1:4], v[26:27], off offset:2016
	global_load_b96 v[23:25], v[26:27], off offset:2032
	ds_load_2addr_stride64_b32 v[30:31], v52 offset1:8
	ds_load_2addr_stride64_b32 v[33:34], v52 offset0:32 offset1:40
	ds_load_2addr_stride64_b32 v[35:36], v52 offset0:64 offset1:72
	ds_load_2addr_stride64_b32 v[37:38], v52 offset0:96 offset1:104
	ds_load_2addr_stride64_b32 v[39:40], v52 offset0:128 offset1:136
	ds_load_2addr_stride64_b32 v[41:42], v52 offset0:160 offset1:168
	ds_load_2addr_stride64_b32 v[43:44], v52 offset0:192 offset1:200
	ds_load_2addr_stride64_b32 v[45:46], v52 offset0:224 offset1:232
	ds_load_2addr_stride64_b32 v[47:48], v52 offset0:48 offset1:56
	ds_load_2addr_stride64_b32 v[155:156], v52 offset0:80 offset1:88
	ds_load_2addr_stride64_b32 v[157:158], v52 offset0:112 offset1:120
	ds_load_2addr_stride64_b32 v[28:29], v52 offset0:16 offset1:24
	ds_load_2addr_stride64_b32 v[159:160], v52 offset0:144 offset1:152
	ds_load_2addr_stride64_b32 v[161:162], v52 offset0:176 offset1:184
	s_wait_dscnt 0xd
	v_lshrrev_b32_e32 v49, 16, v30
	s_wait_dscnt 0xc
	v_lshrrev_b32_e32 v116, 16, v33
	v_lshrrev_b32_e32 v167, 16, v34
	s_wait_dscnt 0xa
	v_lshrrev_b32_e32 v118, 16, v37
	v_lshrrev_b32_e32 v117, 16, v35
	;; [unrolled: 1-line block ×3, first 2 shown]
	s_wait_dscnt 0x9
	v_lshrrev_b32_e32 v163, 16, v39
	s_wait_dscnt 0x7
	v_lshrrev_b32_e32 v165, 16, v43
	v_lshrrev_b32_e32 v164, 16, v41
	;; [unrolled: 1-line block ×3, first 2 shown]
	s_wait_dscnt 0x6
	v_lshrrev_b32_e32 v166, 16, v45
	v_lshrrev_b32_e32 v170, 16, v40
	;; [unrolled: 1-line block ×5, first 2 shown]
	s_wait_dscnt 0x5
	v_lshrrev_b32_e32 v174, 16, v47
	s_wait_dscnt 0x4
	v_lshrrev_b32_e32 v175, 16, v155
	;; [unrolled: 2-line block ×3, first 2 shown]
	s_wait_loadcnt 0x1
	v_lshrrev_b32_e32 v122, 16, v1
	v_lshrrev_b32_e32 v120, 16, v3
	;; [unrolled: 1-line block ×4, first 2 shown]
	s_delay_alu instid0(VALU_DEP_4) | instskip(SKIP_1) | instid1(VALU_DEP_4)
	v_mul_f16_e64 v177, v116, v122
	v_mul_f16_e64 v178, v33, v122
	;; [unrolled: 1-line block ×5, first 2 shown]
	v_fma_f16 v177, v33, v1, -v177
	v_mul_f16_e32 v33, v118, v120
	v_fmac_f16_e64 v180, v117, v2
	v_mul_f16_e64 v182, v39, v119
	v_fmac_f16_e64 v181, v118, v3
	s_wait_loadcnt 0x0
	v_lshrrev_b32_e32 v117, 16, v23
	v_fma_f16 v37, v37, v3, -v33
	v_mul_f16_e64 v33, v167, v122
	v_lshrrev_b32_e32 v118, 16, v24
	v_fmac_f16_e64 v178, v116, v1
	v_fma_f16 v179, v35, v2, -v179
	v_mul_f16_e64 v35, v163, v119
	v_fma_f16 v183, v34, v1, -v33
	v_mul_f16_e32 v33, v34, v122
	v_mul_f16_e64 v34, v168, v121
	v_fmac_f16_e64 v182, v163, v4
	v_lshrrev_b32_e32 v116, 16, v25
	v_mul_f16_e64 v163, v41, v117
	v_fmac_f16_e64 v33, v167, v1
	v_fma_f16 v167, v36, v2, -v34
	v_mul_f16_e64 v185, v36, v121
	v_mul_f16_e64 v36, v165, v118
	;; [unrolled: 1-line block ×3, first 2 shown]
	v_fmac_f16_e64 v163, v164, v23
	v_mul_f16_e64 v164, v43, v118
	v_mul_f16_e64 v34, v169, v120
	v_fma_f16 v36, v43, v24, -v36
	v_mul_f16_e32 v43, v45, v116
	v_fma_f16 v39, v39, v4, -v35
	v_mul_f16_e64 v35, v170, v119
	v_fmac_f16_e64 v164, v165, v24
	v_fma_f16 v165, v38, v3, -v34
	v_mul_f16_e32 v38, v38, v120
	v_fmac_f16_e64 v185, v168, v2
	v_mul_f16_e64 v168, v171, v117
	v_fmac_f16_e64 v43, v166, v25
	v_mul_f16_e64 v166, v166, v116
	v_fma_f16 v186, v40, v4, -v35
	v_mul_f16_e32 v40, v40, v119
	v_fma_f16 v41, v41, v23, -v184
	v_fmac_f16_e64 v38, v169, v3
	v_mul_f16_e64 v169, v42, v117
	v_fma_f16 v42, v42, v23, -v168
	v_mul_f16_e64 v168, v172, v118
	v_fma_f16 v45, v45, v25, -v166
	v_fmac_f16_e64 v40, v170, v4
	v_fmac_f16_e64 v169, v171, v23
	v_mul_f16_e64 v170, v44, v118
	v_mul_f16_e64 v171, v173, v116
	v_fma_f16 v44, v44, v24, -v168
	v_sub_f16_e32 v39, v30, v39
	v_sub_f16_e64 v168, v49, v182
	v_sub_f16_e64 v36, v179, v36
	;; [unrolled: 1-line block ×5, first 2 shown]
	v_sub_f16_e32 v45, v37, v45
	v_sub_f16_e64 v43, v181, v43
	v_fmac_f16_e64 v170, v172, v24
	v_fma_f16 v166, v46, v25, -v171
	v_fma_f16 v30, v30, 2.0, -v39
	v_fma_f16 v49, v49, 2.0, -v168
	;; [unrolled: 1-line block ×8, first 2 shown]
	v_sub_f16_e64 v164, v39, v164
	v_add_f16_e64 v180, v168, v36
	v_sub_f16_e32 v43, v41, v43
	v_add_f16_e64 v45, v163, v45
	v_sub_f16_e64 v171, v30, v171
	v_sub_f16_e64 v172, v49, v172
	v_fma_f16 v39, v39, 2.0, -v164
	v_sub_f16_e64 v181, v177, v37
	v_sub_f16_e64 v179, v178, v179
	v_fma_f16 v41, v41, 2.0, -v43
	v_fma_f16 v168, v168, 2.0, -v180
	;; [unrolled: 1-line block ×7, first 2 shown]
	v_fma_f16 v177, 0xb9a8, v41, v39
	v_fma_f16 v178, 0xb9a8, v36, v168
	v_mul_f16_e32 v46, v46, v116
	v_sub_f16_e64 v182, v30, v37
	v_sub_f16_e64 v163, v49, v163
	v_fmac_f16_e64 v177, 0xb9a8, v36
	v_fmac_f16_e64 v178, 0x39a8, v41
	;; [unrolled: 1-line block ×3, first 2 shown]
	v_fma_f16 v30, v30, 2.0, -v182
	v_fma_f16 v49, v49, 2.0, -v163
	;; [unrolled: 1-line block ×4, first 2 shown]
	v_mul_f16_e64 v173, v47, v122
	ds_load_2addr_stride64_b32 v[34:35], v52 offset0:208 offset1:216
	v_pack_b32_f16 v30, v30, v49
	ds_load_2addr_stride64_b32 v[36:37], v52 offset0:240 offset1:248
	v_pack_b32_f16 v39, v39, v168
	v_lshrrev_b32_e32 v41, 16, v48
	v_lshrrev_b32_e32 v49, 16, v156
	v_fmac_f16_e64 v173, v174, v1
	v_mul_f16_e64 v174, v174, v122
	global_wb scope:SCOPE_SE
	s_wait_dscnt 0x0
	s_barrier_signal -1
	s_barrier_wait -1
	global_inv scope:SCOPE_SE
	ds_store_2addr_stride64_b32 v52, v30, v39 offset1:8
	v_mul_f16_e64 v30, v175, v121
	v_mul_f16_e64 v168, v155, v121
	v_mul_f16_e32 v39, v41, v122
	v_fma_f16 v47, v47, v1, -v174
	v_mul_f16_e64 v174, v49, v121
	v_fma_f16 v30, v155, v2, -v30
	v_mul_f16_e64 v155, v157, v120
	v_fmac_f16_e64 v168, v175, v2
	v_fma_f16 v39, v48, v1, -v39
	v_mul_f16_e32 v48, v48, v122
	v_fma_f16 v174, v156, v2, -v174
	v_lshrrev_b32_e32 v175, 16, v158
	v_mul_f16_e64 v156, v156, v121
	v_fmac_f16_e64 v155, v176, v3
	v_mul_f16_e64 v176, v176, v120
	v_fmac_f16_e32 v48, v41, v1
	v_mul_f16_e64 v41, v175, v120
	v_fmac_f16_e64 v156, v49, v2
	v_lshrrev_b32_e32 v49, 16, v159
	v_fma_f16 v157, v157, v3, -v176
	v_mul_f16_e64 v176, v159, v119
	v_lshrrev_b32_e32 v184, 16, v160
	v_fma_f16 v41, v158, v3, -v41
	v_mul_f16_e64 v187, v49, v119
	v_mul_f16_e64 v158, v158, v120
	v_fmac_f16_e64 v176, v49, v4
	v_lshrrev_b32_e32 v49, 16, v161
	v_mul_f16_e64 v188, v184, v119
	v_fma_f16 v159, v159, v4, -v187
	v_lshrrev_b32_e32 v187, 16, v162
	v_mul_f16_e64 v189, v161, v117
	v_mul_f16_e64 v190, v49, v117
	v_fma_f16 v188, v160, v4, -v188
	v_mul_f16_e64 v160, v160, v119
	v_fmac_f16_e64 v158, v175, v3
	v_fma_f16 v175, 0x39a8, v43, v164
	v_mul_f16_e64 v191, v187, v117
	v_fmac_f16_e64 v189, v49, v23
	v_fma_f16 v49, v161, v23, -v190
	v_lshrrev_b32_e32 v161, 16, v34
	v_lshrrev_b32_e32 v192, 16, v35
	v_fmac_f16_e64 v160, v184, v4
	v_fma_f16 v184, 0x39a8, v45, v180
	v_fmac_f16_e64 v175, 0xb9a8, v45
	v_sub_f16_e64 v45, v31, v186
	v_lshrrev_b32_e32 v186, 16, v31
	v_mul_f16_e64 v190, v34, v118
	v_fma_f16 v191, v162, v23, -v191
	v_mul_f16_e64 v162, v162, v117
	v_mul_f16_e64 v193, v161, v118
	v_lshrrev_b32_e32 v194, 16, v37
	v_mul_f16_e64 v195, v192, v118
	v_sub_f16_e64 v44, v167, v44
	v_sub_f16_e64 v40, v186, v40
	;; [unrolled: 1-line block ×4, first 2 shown]
	v_fmac_f16_e64 v190, v161, v24
	v_lshrrev_b32_e32 v161, 16, v36
	v_fma_f16 v34, v34, v24, -v193
	v_mul_f16_e64 v193, v36, v116
	v_mul_f16_e64 v197, v194, v116
	v_fma_f16 v195, v35, v24, -v195
	v_mul_f16_e32 v35, v35, v118
	v_fmac_f16_e64 v162, v187, v23
	v_fmac_f16_e64 v184, 0x39a8, v43
	v_sub_f16_e64 v43, v185, v170
	v_fma_f16 v167, v167, 2.0, -v44
	v_sub_f16_e64 v42, v183, v42
	v_sub_f16_e32 v46, v38, v46
	v_add_f16_e32 v44, v40, v44
	v_add_f16_e64 v187, v169, v166
	v_mul_f16_e64 v196, v161, v116
	v_fmac_f16_e64 v193, v161, v25
	v_fma_f16 v161, v37, v25, -v197
	v_mul_f16_e32 v37, v37, v116
	v_fmac_f16_e64 v35, v192, v24
	v_fma_f16 v170, v185, 2.0, -v43
	v_sub_f16_e32 v43, v45, v43
	v_sub_f16_e64 v185, v42, v46
	v_fma_f16 v38, v38, 2.0, -v46
	v_fma_f16 v46, v40, 2.0, -v44
	v_fma_f16 v192, v169, 2.0, -v187
	v_fma_f16 v36, v36, v25, -v196
	v_fmac_f16_e64 v37, v194, v25
	v_fma_f16 v31, v31, 2.0, -v45
	v_fma_f16 v183, v183, 2.0, -v42
	;; [unrolled: 1-line block ×6, first 2 shown]
	v_fma_f16 v169, 0xb9a8, v192, v46
	v_lshrrev_b32_e32 v186, 16, v28
	v_fma_f16 v194, 0x39a8, v185, v43
	v_fma_f16 v165, v165, 2.0, -v166
	v_fma_f16 v166, 0xb9a8, v42, v45
	v_fma_f16 v196, 0x39a8, v187, v44
	v_fmac_f16_e64 v169, 0x39a8, v42
	v_sub_f16_e64 v42, v186, v176
	v_fmac_f16_e64 v194, 0xb9a8, v187
	v_sub_f16_e32 v34, v30, v34
	v_sub_f16_e64 v36, v157, v36
	v_sub_f16_e64 v187, v173, v189
	v_fmac_f16_e64 v166, 0xb9a8, v192
	v_fmac_f16_e64 v196, 0x39a8, v185
	v_sub_f16_e64 v159, v28, v159
	v_fma_f16 v176, v186, 2.0, -v42
	v_sub_f16_e64 v185, v168, v190
	v_sub_f16_e32 v49, v47, v49
	v_sub_f16_e64 v186, v155, v193
	v_fma_f16 v30, v30, 2.0, -v34
	v_add_f16_e32 v34, v42, v34
	v_add_f16_e64 v192, v187, v36
	v_sub_f16_e64 v190, v159, v185
	v_sub_f16_e64 v189, v49, v186
	;; [unrolled: 1-line block ×3, first 2 shown]
	v_fma_f16 v42, v42, 2.0, -v34
	v_fma_f16 v197, v187, 2.0, -v192
	v_sub_f16_e64 v170, v40, v170
	v_sub_f16_e64 v165, v183, v165
	v_sub_f16_e32 v38, v33, v38
	v_fma_f16 v168, v168, 2.0, -v185
	v_fma_f16 v185, v49, 2.0, -v189
	;; [unrolled: 1-line block ×4, first 2 shown]
	v_fma_f16 v157, 0xb9a8, v197, v42
	v_fma_f16 v31, v31, 2.0, -v167
	v_fma_f16 v40, v40, 2.0, -v170
	;; [unrolled: 1-line block ×6, first 2 shown]
	v_fma_f16 v155, 0xb9a8, v185, v193
	v_fmac_f16_e64 v157, 0x39a8, v185
	v_sub_f16_e64 v185, v29, v188
	v_lshrrev_b32_e32 v188, 16, v29
	v_sub_f16_e64 v183, v31, v183
	v_sub_f16_e32 v33, v40, v33
	v_fma_f16 v173, v173, 2.0, -v187
	v_fma_f16 v187, 0x39a8, v192, v34
	v_fma_f16 v28, v28, 2.0, -v159
	v_sub_f16_e64 v159, v174, v195
	v_sub_f16_e64 v160, v188, v160
	v_fma_f16 v31, v31, 2.0, -v183
	v_fma_f16 v40, v40, 2.0, -v33
	v_fma_f16 v186, 0x39a8, v189, v190
	v_fmac_f16_e64 v187, 0x39a8, v189
	v_sub_f16_e64 v35, v156, v35
	v_sub_f16_e64 v189, v39, v191
	;; [unrolled: 1-line block ×5, first 2 shown]
	v_fma_f16 v174, v174, 2.0, -v159
	v_add_f16_e64 v159, v160, v159
	v_pack_b32_f16 v31, v31, v40
	v_fma_f16 v40, v45, 2.0, -v166
	v_sub_f16_e32 v30, v28, v30
	v_sub_f16_e64 v45, v176, v168
	v_sub_f16_e32 v36, v47, v36
	v_sub_f16_e64 v49, v173, v49
	v_fmac_f16_e64 v155, 0xb9a8, v197
	v_fmac_f16_e64 v186, 0xb9a8, v192
	v_fma_f16 v29, v29, 2.0, -v185
	v_sub_f16_e64 v191, v185, v35
	v_sub_f16_e64 v192, v189, v37
	v_add_f16_e64 v195, v162, v161
	v_fma_f16 v35, v156, 2.0, -v35
	v_fma_f16 v197, v160, 2.0, -v159
	;; [unrolled: 1-line block ×7, first 2 shown]
	v_sub_f16_e64 v179, v171, v179
	v_add_f16_e64 v181, v172, v181
	v_fma_f16 v28, v28, 2.0, -v30
	v_fma_f16 v168, v176, 2.0, -v45
	;; [unrolled: 1-line block ×7, first 2 shown]
	v_sub_f16_e64 v174, v29, v174
	v_sub_f16_e32 v41, v39, v41
	v_sub_f16_e64 v35, v160, v35
	v_sub_f16_e32 v37, v48, v37
	v_sub_f16_e64 v38, v167, v38
	v_add_f16_e64 v165, v170, v165
	v_fma_f16 v171, v171, 2.0, -v179
	v_fma_f16 v172, v172, 2.0, -v181
	;; [unrolled: 1-line block ×4, first 2 shown]
	v_sub_f16_e32 v47, v28, v47
	v_sub_f16_e64 v173, v168, v173
	v_fma_f16 v158, 0xb9a8, v185, v156
	v_fma_f16 v161, 0xb9a8, v198, v197
	v_fma_f16 v46, v46, 2.0, -v169
	v_sub_f16_e32 v49, v30, v49
	v_fma_f16 v29, v29, 2.0, -v174
	v_fma_f16 v39, v39, 2.0, -v41
	v_add_f16_e32 v36, v45, v36
	v_fma_f16 v160, v160, 2.0, -v35
	v_fma_f16 v48, v48, 2.0, -v37
	v_fma_f16 v189, 0x39a8, v192, v191
	v_fma_f16 v162, 0x39a8, v195, v159
	v_fma_f16 v167, v167, 2.0, -v38
	v_fma_f16 v170, v170, 2.0, -v165
	;; [unrolled: 1-line block ×4, first 2 shown]
	v_pack_b32_f16 v171, v171, v172
	v_pack_b32_f16 v164, v164, v180
	;; [unrolled: 1-line block ×6, first 2 shown]
	v_fma_f16 v28, v28, 2.0, -v47
	v_fma_f16 v168, v168, 2.0, -v173
	;; [unrolled: 1-line block ×4, first 2 shown]
	v_fmac_f16_e64 v158, 0xb9a8, v198
	v_fmac_f16_e64 v161, 0x39a8, v185
	v_fma_f16 v30, v30, 2.0, -v49
	v_sub_f16_e32 v39, v29, v39
	v_fma_f16 v45, v45, 2.0, -v36
	v_fma_f16 v178, v190, 2.0, -v186
	v_sub_f16_e64 v48, v160, v48
	v_fma_f16 v34, v34, 2.0, -v187
	v_pack_b32_f16 v40, v40, v46
	v_fmac_f16_e64 v189, 0xb9a8, v195
	v_fmac_f16_e64 v162, 0x39a8, v192
	v_sub_f16_e64 v37, v174, v37
	v_add_f16_e32 v41, v35, v41
	v_pack_b32_f16 v46, v167, v170
	v_pack_b32_f16 v43, v43, v44
	ds_store_2addr_stride64_b32 v52, v171, v164 offset0:16 offset1:24
	ds_store_2addr_stride64_b32 v52, v163, v172 offset0:32 offset1:40
	;; [unrolled: 1-line block ×5, first 2 shown]
	v_pack_b32_f16 v31, v183, v33
	v_pack_b32_f16 v33, v166, v169
	;; [unrolled: 1-line block ×6, first 2 shown]
	v_fma_f16 v29, v29, 2.0, -v39
	v_fma_f16 v160, v160, 2.0, -v48
	;; [unrolled: 1-line block ×4, first 2 shown]
	v_pack_b32_f16 v30, v30, v45
	v_pack_b32_f16 v34, v178, v34
	v_fma_f16 v174, v174, 2.0, -v37
	v_fma_f16 v35, v35, 2.0, -v41
	;; [unrolled: 1-line block ×4, first 2 shown]
	v_pack_b32_f16 v43, v47, v173
	v_pack_b32_f16 v44, v155, v157
	ds_store_2addr_stride64_b32 v52, v31, v33 offset0:96 offset1:104
	ds_store_2addr_stride64_b32 v52, v38, v40 offset0:112 offset1:120
	;; [unrolled: 1-line block ×5, first 2 shown]
	v_sub_co_u32 v44, vcc_lo, v26, v32
	v_pack_b32_f16 v28, v49, v36
	v_pack_b32_f16 v30, v186, v187
	s_wait_alu 0xfffd
	v_subrev_co_ci_u32_e32 v45, vcc_lo, 0, v27, vcc_lo
	v_pack_b32_f16 v29, v29, v160
	v_pack_b32_f16 v31, v156, v179
	;; [unrolled: 1-line block ×8, first 2 shown]
	ds_store_2addr_stride64_b32 v52, v28, v30 offset0:176 offset1:184
	ds_store_2addr_stride64_b32 v52, v29, v31 offset0:192 offset1:200
	;; [unrolled: 1-line block ×5, first 2 shown]
	global_wb scope:SCOPE_SE
	s_wait_dscnt 0x0
	s_barrier_signal -1
	s_barrier_wait -1
	global_inv scope:SCOPE_SE
	s_clause 0x7
	global_load_b96 v[35:37], v[44:45], off offset:16352
	global_load_b96 v[26:28], v[44:45], off offset:22496
	;; [unrolled: 1-line block ×8, first 2 shown]
	ds_load_2addr_stride64_b32 v[166:167], v52 offset1:8
	ds_load_2addr_stride64_b32 v[155:156], v52 offset0:64 offset1:72
	ds_load_2addr_stride64_b32 v[157:158], v52 offset0:128 offset1:136
	;; [unrolled: 1-line block ×7, first 2 shown]
	s_wait_dscnt 0x7
	v_lshrrev_b32_e32 v178, 16, v166
	s_wait_dscnt 0x6
	v_lshrrev_b32_e32 v159, 16, v155
	s_wait_dscnt 0x5
	v_lshrrev_b32_e32 v160, 16, v157
	s_wait_dscnt 0x4
	v_lshrrev_b32_e32 v165, 16, v168
	v_lshrrev_b32_e32 v180, 16, v156
	v_lshrrev_b32_e32 v181, 16, v158
	;; [unrolled: 1-line block ×3, first 2 shown]
	s_wait_dscnt 0x3
	v_lshrrev_b32_e32 v183, 16, v170
	v_lshrrev_b32_e32 v185, 16, v171
	s_wait_dscnt 0x2
	v_lshrrev_b32_e32 v184, 16, v172
	v_lshrrev_b32_e32 v187, 16, v173
	;; [unrolled: 1-line block ×3, first 2 shown]
	s_wait_loadcnt 0x7
	v_lshrrev_b32_e32 v164, 16, v35
	v_lshrrev_b32_e32 v163, 16, v36
	;; [unrolled: 1-line block ×3, first 2 shown]
	s_delay_alu instid0(VALU_DEP_3) | instskip(NEXT) | instid1(VALU_DEP_3)
	v_mul_f16_e64 v161, v159, v164
	v_mul_f16_e64 v190, v157, v163
	;; [unrolled: 1-line block ×5, first 2 shown]
	v_fma_f16 v189, v155, v35, -v161
	v_mul_f16_e64 v155, v165, v162
	s_wait_loadcnt 0x6
	v_lshrrev_b32_e32 v161, 16, v26
	v_fmac_f16_e64 v190, v160, v36
	v_lshrrev_b32_e32 v160, 16, v27
	v_fmac_f16_e64 v186, v159, v35
	v_fma_f16 v188, v157, v36, -v188
	v_fma_f16 v168, v168, v37, -v155
	v_mul_f16_e64 v155, v180, v161
	v_lshrrev_b32_e32 v157, 16, v28
	v_mul_f16_e64 v192, v156, v161
	v_mul_f16_e64 v159, v181, v160
	;; [unrolled: 1-line block ×3, first 2 shown]
	v_fma_f16 v193, v156, v26, -v155
	v_mul_f16_e64 v155, v182, v157
	v_fmac_f16_e64 v192, v180, v26
	v_fma_f16 v180, v158, v27, -v159
	s_wait_loadcnt 0x5
	v_lshrrev_b32_e32 v159, 16, v29
	v_fmac_f16_e64 v194, v181, v27
	v_fma_f16 v181, v169, v28, -v155
	s_wait_loadcnt 0x4
	v_lshrrev_b32_e32 v156, 16, v32
	v_fmac_f16_e64 v191, v165, v37
	v_mul_f16_e64 v155, v183, v159
	v_lshrrev_b32_e32 v158, 16, v30
	v_mul_f16_e64 v195, v170, v159
	v_mul_f16_e64 v165, v185, v156
	;; [unrolled: 1-line block ×3, first 2 shown]
	v_fma_f16 v196, v170, v29, -v155
	v_lshrrev_b32_e32 v155, 16, v33
	v_fmac_f16_e64 v195, v183, v29
	v_mul_f16_e64 v183, v171, v156
	v_mul_f16_e64 v170, v184, v158
	v_fma_f16 v171, v171, v32, -v165
	v_mul_f16_e64 v165, v187, v155
	v_fmac_f16_e64 v169, v182, v28
	v_mul_f16_e64 v182, v172, v158
	v_fma_f16 v170, v172, v30, -v170
	v_mul_f16_e64 v197, v173, v155
	v_fma_f16 v172, v173, v33, -v165
	v_sub_f16_e64 v173, v166, v188
	v_sub_f16_e64 v188, v178, v190
	;; [unrolled: 1-line block ×4, first 2 shown]
	v_fmac_f16_e64 v197, v187, v33
	v_fma_f16 v166, v166, 2.0, -v173
	v_fma_f16 v178, v178, 2.0, -v188
	;; [unrolled: 1-line block ×4, first 2 shown]
	v_sub_f16_e64 v180, v167, v180
	v_sub_f16_e64 v189, v179, v194
	;; [unrolled: 1-line block ×4, first 2 shown]
	v_lshrrev_b32_e32 v165, 16, v31
	v_sub_f16_e64 v187, v166, v187
	v_fma_f16 v167, v167, 2.0, -v180
	v_fma_f16 v179, v179, 2.0, -v189
	;; [unrolled: 1-line block ×4, first 2 shown]
	v_sub_f16_e64 v186, v178, v186
	v_fmac_f16_e64 v182, v184, v30
	s_wait_dscnt 0x1
	v_lshrrev_b32_e32 v184, 16, v176
	v_mul_f16_e64 v193, v176, v165
	v_fma_f16 v166, v166, 2.0, -v187
	v_sub_f16_e64 v191, v167, v191
	v_sub_f16_e64 v192, v179, v192
	v_fma_f16 v178, v178, 2.0, -v186
	v_fmac_f16_e64 v183, v185, v32
	v_lshrrev_b32_e32 v185, 16, v177
	v_fmac_f16_e64 v193, v184, v31
	v_mul_f16_e64 v184, v184, v165
	v_fma_f16 v167, v167, 2.0, -v191
	v_fma_f16 v179, v179, 2.0, -v192
	v_pack_b32_f16 v178, v166, v178
	v_lshrrev_b32_e32 v166, 16, v34
	v_sub_f16_e64 v190, v173, v190
	v_fma_f16 v176, v176, v31, -v184
	v_add_f16_e64 v168, v188, v168
	v_pack_b32_f16 v167, v167, v179
	v_mul_f16_e64 v179, v185, v166
	v_sub_f16_e64 v184, v180, v169
	v_add_f16_e64 v181, v189, v181
	v_fma_f16 v173, v173, 2.0, -v190
	v_fma_f16 v169, v188, 2.0, -v168
	v_fma_f16 v179, v177, v34, -v179
	v_mul_f16_e64 v177, v177, v166
	v_fma_f16 v180, v180, 2.0, -v184
	v_fma_f16 v188, v189, 2.0, -v181
	v_pack_b32_f16 v173, v173, v169
	ds_store_2addr_stride64_b32 v52, v178, v167 offset1:8
	s_wait_dscnt 0x1
	v_lshrrev_b32_e32 v167, 16, v174
	v_fmac_f16_e64 v177, v185, v34
	v_pack_b32_f16 v180, v180, v188
	v_lshrrev_b32_e32 v188, 16, v175
	v_pack_b32_f16 v185, v187, v186
	v_pack_b32_f16 v186, v191, v192
	v_sub_f16_e64 v178, v174, v170
	v_sub_f16_e64 v172, v175, v172
	ds_load_2addr_stride64_b32 v[169:170], v52 offset0:96 offset1:104
	v_sub_f16_e64 v182, v167, v182
	ds_store_2addr_stride64_b32 v52, v173, v180 offset0:64 offset1:72
	ds_store_2addr_stride64_b32 v52, v185, v186 offset0:128 offset1:136
	v_sub_f16_e64 v180, v196, v176
	v_sub_f16_e64 v185, v195, v193
	;; [unrolled: 1-line block ×5, first 2 shown]
	v_fma_f16 v187, v174, 2.0, -v178
	v_fma_f16 v175, v175, 2.0, -v172
	;; [unrolled: 1-line block ×8, first 2 shown]
	v_sub_f16_e64 v192, v187, v176
	v_sub_f16_e64 v189, v167, v189
	v_pack_b32_f16 v190, v190, v168
	v_sub_f16_e64 v193, v175, v171
	v_sub_f16_e64 v183, v188, v183
	v_pack_b32_f16 v171, v184, v181
	v_fma_f16 v176, v187, 2.0, -v192
	v_fma_f16 v167, v167, 2.0, -v189
	;; [unrolled: 1-line block ×4, first 2 shown]
	ds_load_2addr_stride64_b32 v[173:174], v52 offset0:160 offset1:168
	ds_store_2addr_stride64_b32 v52, v190, v171 offset0:192 offset1:200
	v_pack_b32_f16 v171, v176, v167
	s_wait_dscnt 0x4
	v_lshrrev_b32_e32 v191, 16, v169
	v_pack_b32_f16 v175, v175, v181
	s_wait_loadcnt 0x3
	v_lshrrev_b32_e32 v168, 16, v41
	v_sub_f16_e64 v185, v178, v185
	v_add_f16_e64 v180, v182, v180
	v_lshrrev_b32_e32 v184, 16, v170
	ds_store_2addr_stride64_b32 v52, v171, v175 offset0:16 offset1:24
	ds_load_2addr_stride64_b32 v[175:176], v52 offset0:224 offset1:232
	v_mul_f16_e64 v187, v169, v168
	v_mul_f16_e64 v188, v191, v168
	s_wait_loadcnt 0x2
	v_lshrrev_b32_e32 v167, 16, v38
	v_lshrrev_b32_e32 v171, 16, v42
	v_add_f16_e64 v194, v186, v179
	v_fmac_f16_e64 v187, v191, v41
	v_fma_f16 v188, v169, v41, -v188
	v_fma_f16 v169, v178, 2.0, -v185
	v_sub_f16_e64 v191, v172, v177
	v_fma_f16 v177, v182, 2.0, -v180
	s_wait_dscnt 0x3
	v_lshrrev_b32_e32 v181, 16, v173
	v_mul_f16_e64 v190, v184, v167
	v_mul_f16_e64 v182, v173, v171
	;; [unrolled: 1-line block ×3, first 2 shown]
	v_pack_b32_f16 v196, v169, v177
	ds_load_2addr_stride64_b32 v[177:178], v52 offset0:32 offset1:40
	v_fma_f16 v190, v170, v38, -v190
	v_fma_f16 v195, v172, 2.0, -v191
	v_fma_f16 v186, v186, 2.0, -v194
	v_lshrrev_b32_e32 v197, 16, v174
	v_fmac_f16_e64 v182, v181, v42
	v_mul_f16_e64 v181, v181, v171
	v_lshrrev_b32_e32 v170, 16, v39
	s_wait_dscnt 0x1
	v_lshrrev_b32_e32 v198, 16, v175
	v_lshrrev_b32_e32 v172, 16, v43
	;; [unrolled: 1-line block ×4, first 2 shown]
	v_mul_f16_e64 v200, v197, v170
	v_pack_b32_f16 v186, v195, v186
	v_mul_f16_e64 v195, v198, v172
	v_fma_f16 v173, v173, v42, -v181
	v_mul_f16_e64 v181, v199, v169
	v_fma_f16 v200, v174, v39, -v200
	;; [unrolled: 2-line block ×4, first 2 shown]
	v_mul_f16_e64 v176, v176, v169
	v_pack_b32_f16 v183, v193, v183
	v_fmac_f16_e64 v179, v184, v38
	v_fmac_f16_e64 v174, v197, v39
	s_wait_dscnt 0x0
	v_sub_f16_e64 v184, v178, v200
	v_fmac_f16_e64 v176, v199, v40
	v_lshrrev_b32_e32 v193, 16, v178
	v_sub_f16_e64 v195, v188, v195
	v_sub_f16_e64 v197, v190, v181
	v_pack_b32_f16 v189, v192, v189
	v_fmac_f16_e64 v175, v198, v43
	v_lshrrev_b32_e32 v192, 16, v177
	v_sub_f16_e64 v173, v177, v173
	v_fma_f16 v178, v178, 2.0, -v184
	v_sub_f16_e64 v174, v193, v174
	v_sub_f16_e64 v176, v179, v176
	v_fma_f16 v181, v188, 2.0, -v195
	v_fma_f16 v188, v190, 2.0, -v197
	v_sub_f16_e64 v182, v192, v182
	v_sub_f16_e64 v175, v187, v175
	v_fma_f16 v177, v177, 2.0, -v173
	v_fma_f16 v190, v193, 2.0, -v174
	;; [unrolled: 1-line block ×3, first 2 shown]
	v_sub_f16_e64 v188, v178, v188
	v_fma_f16 v192, v192, 2.0, -v182
	v_fma_f16 v187, v187, 2.0, -v175
	v_sub_f16_e64 v193, v177, v181
	v_pack_b32_f16 v185, v185, v180
	v_sub_f16_e64 v198, v190, v179
	v_fma_f16 v199, v178, 2.0, -v188
	ds_load_2addr_stride64_b32 v[178:179], v52 offset0:112 offset1:120
	ds_load_2addr_stride64_b32 v[180:181], v52 offset0:176 offset1:184
	v_sub_f16_e64 v187, v192, v187
	v_sub_f16_e64 v175, v173, v175
	v_add_f16_e64 v195, v182, v195
	v_sub_f16_e64 v200, v184, v176
	v_add_f16_e64 v197, v174, v197
	v_fma_f16 v177, v177, 2.0, -v193
	v_fma_f16 v192, v192, 2.0, -v187
	;; [unrolled: 1-line block ×7, first 2 shown]
	v_pack_b32_f16 v190, v191, v194
	v_pack_b32_f16 v177, v177, v192
	;; [unrolled: 1-line block ×5, first 2 shown]
	ds_store_2addr_stride64_b32 v52, v196, v186 offset0:80 offset1:88
	ds_store_2addr_stride64_b32 v52, v189, v183 offset0:144 offset1:152
	;; [unrolled: 1-line block ×5, first 2 shown]
	ds_load_2addr_stride64_b32 v[182:183], v52 offset0:240 offset1:248
	s_wait_dscnt 0x7
	v_lshrrev_b32_e32 v174, 16, v178
	s_wait_loadcnt 0x1
	v_lshrrev_b32_e32 v176, 16, v47
	v_pack_b32_f16 v177, v193, v187
	v_pack_b32_f16 v184, v188, v198
	s_wait_dscnt 0x6
	v_lshrrev_b32_e32 v186, 16, v180
	v_lshrrev_b32_e32 v187, 16, v179
	v_mul_f16_e64 v185, v174, v176
	v_pack_b32_f16 v188, v175, v195
	ds_store_2addr_stride64_b32 v52, v177, v184 offset0:160 offset1:168
	v_lshrrev_b32_e32 v175, 16, v48
	s_wait_loadcnt 0x0
	v_lshrrev_b32_e32 v173, 16, v44
	v_fma_f16 v192, v178, v47, -v185
	ds_load_2addr_stride64_b32 v[184:185], v52 offset0:48 offset1:56
	v_mul_f16_e64 v190, v178, v176
	v_lshrrev_b32_e32 v178, 16, v49
	v_mul_f16_e64 v177, v187, v173
	v_mul_f16_e64 v193, v186, v175
	v_lshrrev_b32_e32 v191, 16, v181
	v_fmac_f16_e64 v190, v174, v47
	s_wait_dscnt 0x2
	v_lshrrev_b32_e32 v195, 16, v182
	v_fma_f16 v194, v179, v44, -v177
	v_lshrrev_b32_e32 v177, 16, v45
	v_lshrrev_b32_e32 v196, 16, v183
	;; [unrolled: 1-line block ×3, first 2 shown]
	v_mul_f16_e64 v198, v195, v178
	v_fma_f16 v193, v180, v48, -v193
	v_mul_f16_e64 v180, v180, v175
	v_pack_b32_f16 v189, v200, v197
	v_mul_f16_e64 v197, v191, v177
	v_fma_f16 v198, v182, v49, -v198
	v_mul_f16_e64 v182, v182, v178
	v_mul_f16_e64 v199, v196, v174
	v_fmac_f16_e64 v180, v186, v48
	s_wait_dscnt 0x0
	v_sub_f16_e64 v186, v184, v193
	v_lshrrev_b32_e32 v193, 16, v184
	v_fmac_f16_e64 v182, v195, v49
	v_mul_f16_e64 v179, v179, v173
	v_fma_f16 v197, v181, v45, -v197
	v_mul_f16_e64 v181, v181, v177
	v_fma_f16 v199, v183, v46, -v199
	v_mul_f16_e64 v183, v183, v174
	v_sub_f16_e64 v195, v192, v198
	v_sub_f16_e64 v180, v193, v180
	;; [unrolled: 1-line block ×3, first 2 shown]
	v_fmac_f16_e64 v179, v187, v44
	v_fmac_f16_e64 v181, v191, v45
	v_fma_f16 v187, v192, 2.0, -v195
	v_fma_f16 v192, v193, 2.0, -v180
	v_lshrrev_b32_e32 v193, 16, v185
	v_fmac_f16_e64 v183, v196, v46
	v_fma_f16 v184, v184, 2.0, -v186
	v_fma_f16 v190, v190, 2.0, -v182
	v_sub_f16_e64 v191, v185, v197
	v_sub_f16_e64 v181, v193, v181
	v_sub_f16_e64 v196, v194, v199
	v_sub_f16_e64 v183, v179, v183
	v_sub_f16_e64 v187, v184, v187
	v_sub_f16_e64 v190, v192, v190
	v_fma_f16 v185, v185, 2.0, -v191
	v_fma_f16 v193, v193, 2.0, -v181
	v_fma_f16 v194, v194, 2.0, -v196
	v_fma_f16 v179, v179, 2.0, -v183
	v_fma_f16 v184, v184, 2.0, -v187
	v_fma_f16 v192, v192, 2.0, -v190
	v_sub_f16_e64 v182, v186, v182
	v_sub_f16_e64 v194, v185, v194
	;; [unrolled: 1-line block ×4, first 2 shown]
	v_pack_b32_f16 v184, v184, v192
	v_add_f16_e64 v192, v180, v195
	v_add_f16_e64 v195, v181, v196
	v_fma_f16 v185, v185, 2.0, -v194
	v_fma_f16 v193, v193, 2.0, -v179
	;; [unrolled: 1-line block ×6, first 2 shown]
	v_pack_b32_f16 v185, v185, v193
	v_pack_b32_f16 v179, v194, v179
	;; [unrolled: 1-line block ×7, first 2 shown]
	ds_store_2addr_stride64_b32 v52, v188, v189 offset0:224 offset1:232
	ds_store_2addr_stride64_b32 v52, v184, v185 offset0:48 offset1:56
	ds_store_2addr_stride64_b32 v52, v180, v181 offset0:112 offset1:120
	ds_store_2addr_stride64_b32 v52, v186, v179 offset0:176 offset1:184
	ds_store_2addr_stride64_b32 v52, v182, v183 offset0:240 offset1:248
	global_wb scope:SCOPE_SE
	s_wait_dscnt 0x0
	s_barrier_signal -1
	s_barrier_wait -1
	global_inv scope:SCOPE_SE
	global_load_b32 v179, v52, s[8:9] offset:65536
	s_add_nc_u64 s[8:9], s[8:9], 0x10000
	s_clause 0x1e
	global_load_b32 v180, v52, s[8:9] offset:2048
	global_load_b32 v187, v52, s[8:9] offset:8192
	;; [unrolled: 1-line block ×31, first 2 shown]
	ds_load_2addr_stride64_b32 v[181:182], v52 offset1:8
	ds_load_2addr_stride64_b32 v[183:184], v52 offset0:32 offset1:40
	s_wait_dscnt 0x1
	v_lshrrev_b32_e32 v186, 16, v181
	v_lshrrev_b32_e32 v218, 16, v182
	s_wait_dscnt 0x0
	v_lshrrev_b32_e32 v223, 16, v183
	v_lshrrev_b32_e32 v224, 16, v184
	s_wait_loadcnt 0x1e
	v_lshrrev_b32_e32 v219, 16, v180
	s_wait_loadcnt 0x1d
	;; [unrolled: 2-line block ×3, first 2 shown]
	v_lshrrev_b32_e32 v225, 16, v188
	v_mul_f16_e64 v221, v218, v219
	v_mul_f16_e64 v219, v182, v219
	s_delay_alu instid0(VALU_DEP_2) | instskip(NEXT) | instid1(VALU_DEP_4)
	v_fma_f16 v182, v182, v180, -v221
	v_mul_f16_e64 v221, v224, v225
	s_delay_alu instid0(VALU_DEP_3) | instskip(SKIP_2) | instid1(VALU_DEP_2)
	v_fmac_f16_e64 v219, v218, v180
	s_wait_loadcnt 0x1a
	v_lshrrev_b32_e32 v218, 16, v190
	v_pack_b32_f16 v182, v182, v219
	v_lshrrev_b32_e32 v185, 16, v179
	s_delay_alu instid0(VALU_DEP_1) | instskip(SKIP_1) | instid1(VALU_DEP_2)
	v_mul_f16_e64 v217, v181, v185
	v_mul_f16_e64 v220, v186, v185
	v_fmac_f16_e64 v217, v186, v179
	ds_load_2addr_stride64_b32 v[185:186], v52 offset0:64 offset1:72
	v_fma_f16 v181, v181, v179, -v220
	v_mul_f16_e64 v179, v223, v222
	v_mul_f16_e64 v220, v183, v222
	;; [unrolled: 1-line block ×3, first 2 shown]
	v_fma_f16 v184, v184, v188, -v221
	v_pack_b32_f16 v181, v181, v217
	v_fma_f16 v183, v183, v187, -v179
	ds_load_2addr_stride64_b32 v[179:180], v52 offset0:96 offset1:104
	v_fmac_f16_e64 v220, v223, v187
	v_fmac_f16_e64 v222, v224, v188
	v_lshrrev_b32_e32 v187, 16, v189
	ds_store_2addr_stride64_b32 v52, v181, v182 offset1:8
	v_pack_b32_f16 v183, v183, v220
	v_pack_b32_f16 v184, v184, v222
	s_wait_dscnt 0x2
	v_lshrrev_b32_e32 v188, 16, v185
	v_lshrrev_b32_e32 v217, 16, v186
	v_mul_f16_e64 v219, v185, v187
	ds_store_2addr_stride64_b32 v52, v183, v184 offset0:32 offset1:40
	s_wait_loadcnt 0x19
	v_lshrrev_b32_e32 v184, 16, v191
	v_mul_f16_e64 v181, v188, v187
	v_mul_f16_e64 v183, v217, v218
	;; [unrolled: 1-line block ×3, first 2 shown]
	v_fmac_f16_e64 v219, v188, v189
	s_wait_dscnt 0x2
	v_lshrrev_b32_e32 v188, 16, v179
	v_fma_f16 v185, v185, v189, -v181
	ds_load_2addr_stride64_b32 v[181:182], v52 offset0:128 offset1:136
	v_lshrrev_b32_e32 v189, 16, v180
	s_wait_loadcnt 0x18
	v_lshrrev_b32_e32 v218, 16, v192
	v_fma_f16 v186, v186, v190, -v183
	v_mul_f16_e64 v220, v179, v184
	v_fmac_f16_e64 v187, v217, v190
	v_mul_f16_e64 v190, v188, v184
	ds_load_2addr_stride64_b32 v[183:184], v52 offset0:160 offset1:168
	v_mul_f16_e64 v217, v189, v218
	v_mul_f16_e64 v218, v180, v218
	v_fmac_f16_e64 v220, v188, v191
	v_fma_f16 v179, v179, v191, -v190
	v_pack_b32_f16 v185, v185, v219
	v_fma_f16 v180, v180, v192, -v217
	v_fmac_f16_e64 v218, v189, v192
	s_wait_loadcnt 0x17
	v_lshrrev_b32_e32 v188, 16, v193
	v_pack_b32_f16 v186, v186, v187
	v_pack_b32_f16 v179, v179, v220
	s_wait_loadcnt 0x16
	v_lshrrev_b32_e32 v191, 16, v194
	v_pack_b32_f16 v180, v180, v218
	s_wait_dscnt 0x1
	v_lshrrev_b32_e32 v187, 16, v181
	v_mul_f16_e64 v189, v181, v188
	v_lshrrev_b32_e32 v190, 16, v182
	ds_store_2addr_stride64_b32 v52, v185, v186 offset0:64 offset1:72
	ds_store_2addr_stride64_b32 v52, v179, v180 offset0:96 offset1:104
	v_mul_f16_e64 v185, v187, v188
	v_fmac_f16_e64 v189, v187, v193
	v_mul_f16_e64 v186, v190, v191
	s_wait_loadcnt 0x15
	v_lshrrev_b32_e32 v187, 16, v195
	ds_load_2addr_stride64_b32 v[179:180], v52 offset0:192 offset1:200
	v_fma_f16 v185, v181, v193, -v185
	s_wait_dscnt 0x3
	v_lshrrev_b32_e32 v181, 16, v183
	v_mul_f16_e64 v191, v182, v191
	v_fma_f16 v186, v182, v194, -v186
	v_mul_f16_e64 v193, v183, v187
	v_lshrrev_b32_e32 v188, 16, v184
	v_mul_f16_e64 v182, v181, v187
	s_wait_loadcnt 0x14
	v_lshrrev_b32_e32 v192, 16, v196
	v_fmac_f16_e64 v191, v190, v194
	v_fmac_f16_e64 v193, v181, v195
	v_pack_b32_f16 v185, v185, v189
	v_fma_f16 v183, v183, v195, -v182
	ds_load_2addr_stride64_b32 v[181:182], v52 offset0:224 offset1:232
	v_mul_f16_e64 v187, v188, v192
	v_mul_f16_e64 v190, v184, v192
	v_pack_b32_f16 v186, v186, v191
	v_pack_b32_f16 v183, v183, v193
	s_wait_loadcnt 0x12
	v_lshrrev_b32_e32 v191, 16, v198
	v_fma_f16 v184, v184, v196, -v187
	v_fmac_f16_e64 v190, v188, v196
	v_lshrrev_b32_e32 v187, 16, v197
	s_wait_dscnt 0x1
	v_lshrrev_b32_e32 v188, 16, v179
	ds_store_2addr_stride64_b32 v52, v185, v186 offset0:128 offset1:136
	s_wait_loadcnt 0x10
	v_lshrrev_b32_e32 v192, 16, v200
	v_pack_b32_f16 v184, v184, v190
	v_mul_f16_e64 v189, v179, v187
	v_lshrrev_b32_e32 v190, 16, v180
	v_mul_f16_e64 v185, v188, v187
	v_mul_f16_e64 v187, v180, v191
	ds_store_2addr_stride64_b32 v52, v183, v184 offset0:160 offset1:168
	v_fmac_f16_e64 v189, v188, v197
	v_mul_f16_e64 v186, v190, v191
	v_fma_f16 v185, v179, v197, -v185
	v_lshrrev_b32_e32 v179, 16, v199
	ds_load_2addr_stride64_b32 v[183:184], v52 offset0:16 offset1:24
	s_wait_dscnt 0x3
	v_lshrrev_b32_e32 v188, 16, v181
	v_lshrrev_b32_e32 v191, 16, v182
	v_fma_f16 v186, v180, v198, -v186
	v_mul_f16_e64 v193, v181, v179
	v_fmac_f16_e64 v187, v190, v198
	v_mul_f16_e64 v190, v188, v179
	ds_load_2addr_stride64_b32 v[179:180], v52 offset0:48 offset1:56
	v_mul_f16_e64 v194, v191, v192
	v_mul_f16_e64 v192, v182, v192
	v_fmac_f16_e64 v193, v188, v199
	v_fma_f16 v181, v181, v199, -v190
	s_wait_loadcnt 0xf
	v_lshrrev_b32_e32 v188, 16, v201
	v_fma_f16 v182, v182, v200, -v194
	v_fmac_f16_e64 v192, v191, v200
	v_pack_b32_f16 v185, v185, v189
	v_pack_b32_f16 v186, v186, v187
	;; [unrolled: 1-line block ×3, first 2 shown]
	s_wait_loadcnt 0xc
	v_lshrrev_b32_e32 v191, 16, v204
	v_pack_b32_f16 v182, v182, v192
	s_wait_dscnt 0x1
	v_lshrrev_b32_e32 v187, 16, v183
	v_mul_f16_e64 v189, v183, v188
	v_lshrrev_b32_e32 v190, 16, v184
	ds_store_2addr_stride64_b32 v52, v185, v186 offset0:192 offset1:200
	ds_store_2addr_stride64_b32 v52, v181, v182 offset0:224 offset1:232
	ds_load_2addr_stride64_b32 v[181:182], v52 offset0:80 offset1:88
	v_mul_f16_e64 v185, v187, v188
	v_fmac_f16_e64 v189, v187, v201
	v_mul_f16_e64 v186, v190, v191
	v_mul_f16_e64 v187, v184, v191
	v_lshrrev_b32_e32 v188, 16, v202
	s_wait_dscnt 0x3
	v_lshrrev_b32_e32 v191, 16, v179
	v_lshrrev_b32_e32 v192, 16, v180
	v_lshrrev_b32_e32 v193, 16, v203
	v_fma_f16 v183, v183, v201, -v185
	v_fma_f16 v184, v184, v204, -v186
	v_mul_f16_e64 v185, v179, v188
	v_mul_f16_e64 v186, v191, v188
	v_mul_f16_e64 v188, v192, v193
	v_fmac_f16_e64 v187, v190, v204
	v_mul_f16_e64 v190, v180, v193
	v_fmac_f16_e64 v185, v191, v202
	v_fma_f16 v186, v179, v202, -v186
	v_fma_f16 v188, v180, v203, -v188
	ds_load_2addr_stride64_b32 v[179:180], v52 offset0:112 offset1:120
	v_fmac_f16_e64 v190, v192, v203
	v_pack_b32_f16 v183, v183, v189
	v_pack_b32_f16 v184, v184, v187
	;; [unrolled: 1-line block ×3, first 2 shown]
	s_wait_loadcnt 0xb
	v_lshrrev_b32_e32 v189, 16, v205
	v_pack_b32_f16 v186, v188, v190
	ds_store_2addr_stride64_b32 v52, v183, v184 offset0:16 offset1:24
	ds_store_2addr_stride64_b32 v52, v185, v186 offset0:48 offset1:56
	s_wait_dscnt 0x3
	v_lshrrev_b32_e32 v187, 16, v181
	ds_load_2addr_stride64_b32 v[183:184], v52 offset0:144 offset1:152
	v_mul_f16_e64 v188, v181, v189
	v_lshrrev_b32_e32 v190, 16, v182
	s_wait_loadcnt 0x8
	v_lshrrev_b32_e32 v191, 16, v208
	v_mul_f16_e64 v185, v187, v189
	v_lshrrev_b32_e32 v186, 16, v206
	v_fmac_f16_e64 v188, v187, v205
	v_lshrrev_b32_e32 v193, 16, v207
	v_mul_f16_e64 v187, v190, v191
	v_fma_f16 v185, v181, v205, -v185
	v_mul_f16_e64 v189, v182, v191
	s_wait_dscnt 0x3
	v_lshrrev_b32_e32 v181, 16, v179
	v_mul_f16_e64 v191, v179, v186
	v_lshrrev_b32_e32 v192, 16, v180
	v_fma_f16 v187, v182, v208, -v187
	v_fmac_f16_e64 v189, v190, v208
	v_mul_f16_e64 v186, v181, v186
	v_fmac_f16_e64 v191, v181, v206
	ds_load_2addr_stride64_b32 v[181:182], v52 offset0:176 offset1:184
	v_mul_f16_e64 v190, v192, v193
	v_mul_f16_e64 v193, v180, v193
	v_fma_f16 v186, v179, v206, -v186
	s_wait_loadcnt 0x7
	v_lshrrev_b32_e32 v179, 16, v209
	v_pack_b32_f16 v185, v185, v188
	s_wait_dscnt 0x1
	v_lshrrev_b32_e32 v188, 16, v183
	v_fma_f16 v190, v180, v207, -v190
	v_pack_b32_f16 v187, v187, v189
	v_mul_f16_e64 v189, v183, v179
	v_lshrrev_b32_e32 v194, 16, v184
	s_wait_loadcnt 0x4
	v_lshrrev_b32_e32 v195, 16, v212
	v_fmac_f16_e64 v193, v192, v207
	v_mul_f16_e64 v192, v188, v179
	ds_load_2addr_stride64_b32 v[179:180], v52 offset0:208 offset1:216
	ds_store_2addr_stride64_b32 v52, v185, v187 offset0:80 offset1:88
	v_mul_f16_e64 v185, v194, v195
	v_fmac_f16_e64 v189, v188, v209
	v_lshrrev_b32_e32 v187, 16, v210
	v_fma_f16 v188, v183, v209, -v192
	v_mul_f16_e64 v192, v184, v195
	s_wait_dscnt 0x2
	v_lshrrev_b32_e32 v195, 16, v181
	v_fma_f16 v185, v184, v212, -v185
	ds_load_2addr_stride64_b32 v[183:184], v52 offset0:240 offset1:248
	v_mul_f16_e64 v196, v181, v187
	v_lshrrev_b32_e32 v197, 16, v182
	v_lshrrev_b32_e32 v198, 16, v211
	v_mul_f16_e64 v187, v195, v187
	v_fmac_f16_e64 v192, v194, v212
	v_fmac_f16_e64 v196, v195, v210
	s_wait_loadcnt 0x0
	v_lshrrev_b32_e32 v199, 16, v216
	v_mul_f16_e64 v194, v197, v198
	v_mul_f16_e64 v195, v182, v198
	v_fma_f16 v181, v181, v210, -v187
	v_lshrrev_b32_e32 v187, 16, v213
	s_wait_dscnt 0x2
	v_lshrrev_b32_e32 v198, 16, v179
	v_fma_f16 v182, v182, v211, -v194
	v_lshrrev_b32_e32 v194, 16, v180
	v_fmac_f16_e64 v195, v197, v211
	v_mul_f16_e64 v200, v179, v187
	v_mul_f16_e64 v187, v198, v187
	v_pack_b32_f16 v186, v186, v191
	v_mul_f16_e64 v191, v194, v199
	v_lshrrev_b32_e32 v197, 16, v214
	v_fmac_f16_e64 v200, v198, v213
	v_fma_f16 v179, v179, v213, -v187
	v_mul_f16_e64 v187, v180, v199
	s_wait_dscnt 0x0
	v_lshrrev_b32_e32 v198, 16, v183
	v_lshrrev_b32_e32 v199, 16, v184
	;; [unrolled: 1-line block ×3, first 2 shown]
	v_fma_f16 v180, v180, v216, -v191
	v_fmac_f16_e64 v187, v194, v216
	v_mul_f16_e64 v191, v183, v197
	v_mul_f16_e64 v194, v198, v197
	;; [unrolled: 1-line block ×4, first 2 shown]
	v_pack_b32_f16 v190, v190, v193
	v_fmac_f16_e64 v191, v198, v214
	v_fma_f16 v183, v183, v214, -v194
	v_fma_f16 v184, v184, v215, -v197
	v_fmac_f16_e64 v201, v199, v215
	v_pack_b32_f16 v188, v188, v189
	v_pack_b32_f16 v185, v185, v192
	;; [unrolled: 1-line block ×8, first 2 shown]
	ds_store_2addr_stride64_b32 v52, v186, v190 offset0:112 offset1:120
	ds_store_2addr_stride64_b32 v52, v188, v185 offset0:144 offset1:152
	;; [unrolled: 1-line block ×5, first 2 shown]
	global_wb scope:SCOPE_SE
	s_wait_dscnt 0x0
	s_barrier_signal -1
	s_barrier_wait -1
	global_inv scope:SCOPE_SE
	ds_load_2addr_stride64_b32 v[187:188], v52 offset1:8
	ds_load_2addr_stride64_b32 v[189:190], v52 offset0:64 offset1:72
	ds_load_2addr_stride64_b32 v[191:192], v52 offset0:192 offset1:200
	;; [unrolled: 1-line block ×7, first 2 shown]
	s_wait_dscnt 0x7
	v_lshrrev_b32_e32 v179, 16, v188
	s_wait_dscnt 0x6
	v_lshrrev_b32_e32 v180, 16, v190
	;; [unrolled: 2-line block ×8, first 2 shown]
	v_sub_f16_e64 v196, v194, v196
	v_sub_f16_e64 v181, v180, v181
	;; [unrolled: 1-line block ×8, first 2 shown]
	v_add_f16_e64 v218, v198, v181
	v_sub_f16_e64 v204, v186, v196
	v_add_f16_e64 v203, v202, v183
	v_fma_f16 v179, v179, 2.0, -v184
	v_sub_f16_e64 v220, v184, v192
	v_fma_f16 v180, v180, 2.0, -v181
	v_fma_f16 v206, v186, 2.0, -v204
	;; [unrolled: 1-line block ×11, first 2 shown]
	v_sub_f16_e64 v188, v186, v188
	v_sub_f16_e64 v194, v179, v180
	;; [unrolled: 1-line block ×4, first 2 shown]
	v_fma_f16 v221, 0xb9a8, v205, v219
	v_fma_f16 v183, 0xb9a8, v206, v184
	;; [unrolled: 1-line block ×4, first 2 shown]
	v_fma_f16 v186, v186, 2.0, -v188
	v_fma_f16 v196, v179, 2.0, -v194
	;; [unrolled: 1-line block ×4, first 2 shown]
	v_fmac_f16_e64 v221, 0x39a8, v206
	v_fmac_f16_e64 v183, 0xb9a8, v205
	;; [unrolled: 1-line block ×4, first 2 shown]
	v_add_f16_e64 v190, v188, v182
	v_sub_f16_e64 v198, v194, v180
	v_sub_f16_e64 v200, v186, v179
	v_sub_f16_e64 v222, v196, v181
	v_pack_b32_f16 v182, v185, v192
	v_pack_b32_f16 v180, v221, v183
	;; [unrolled: 1-line block ×3, first 2 shown]
	v_fma_f16 v188, v188, 2.0, -v190
	v_fma_f16 v185, v218, 2.0, -v185
	;; [unrolled: 1-line block ×8, first 2 shown]
	v_pack_b32_f16 v179, v200, v222
	v_pack_b32_f16 v186, v185, v190
	;; [unrolled: 1-line block ×3, first 2 shown]
	v_sub_f16_e64 v188, v187, v197
	v_pack_b32_f16 v184, v194, v183
	v_pack_b32_f16 v183, v198, v196
	v_lshrrev_b32_e32 v190, 16, v197
	v_lshrrev_b32_e32 v194, 16, v191
	;; [unrolled: 1-line block ×3, first 2 shown]
	v_sub_f16_e64 v197, v199, v201
	v_lshrrev_b32_e32 v198, 16, v195
	v_lshrrev_b32_e32 v200, 16, v189
	;; [unrolled: 1-line block ×5, first 2 shown]
	v_sub_f16_e64 v191, v189, v191
	v_sub_f16_e64 v194, v200, v194
	;; [unrolled: 1-line block ×4, first 2 shown]
	v_fma_f16 v187, v187, 2.0, -v188
	v_sub_f16_e64 v195, v193, v195
	v_fma_f16 v189, v189, 2.0, -v191
	v_sub_f16_e64 v190, v192, v190
	v_fma_f16 v201, v201, 2.0, -v196
	v_add_f16_e64 v219, v188, v194
	v_add_f16_e64 v220, v197, v198
	v_fma_f16 v198, v218, 2.0, -v198
	v_fma_f16 v199, v199, 2.0, -v197
	;; [unrolled: 1-line block ×4, first 2 shown]
	v_sub_f16_e64 v191, v190, v191
	v_sub_f16_e64 v195, v196, v195
	v_fma_f16 v194, v200, 2.0, -v194
	v_sub_f16_e64 v189, v187, v189
	v_fma_f16 v200, 0x39a8, v220, v219
	v_sub_f16_e64 v198, v201, v198
	ds_load_2addr_stride64_b32 v[202:203], v52 offset0:16 offset1:24
	ds_load_2addr_stride64_b32 v[204:205], v52 offset0:48 offset1:56
	;; [unrolled: 1-line block ×8, first 2 shown]
	v_fma_f16 v218, 0x39a8, v195, v191
	v_sub_f16_e64 v194, v192, v194
	v_sub_f16_e64 v193, v199, v193
	v_fmac_f16_e64 v200, 0x39a8, v195
	v_add_f16_e64 v221, v189, v198
	v_fma_f16 v188, v188, 2.0, -v219
	v_fma_f16 v197, v197, 2.0, -v220
	;; [unrolled: 1-line block ×4, first 2 shown]
	v_fmac_f16_e64 v218, 0xb9a8, v220
	v_sub_f16_e64 v196, v194, v193
	v_fma_f16 v220, v189, 2.0, -v221
	v_fma_f16 v222, 0xb9a8, v197, v188
	v_fma_f16 v223, 0xb9a8, v195, v190
	v_fma_f16 v187, v187, 2.0, -v189
	v_fma_f16 v189, v192, 2.0, -v194
	;; [unrolled: 1-line block ×4, first 2 shown]
	v_fmac_f16_e64 v222, 0x39a8, v195
	v_fmac_f16_e64 v223, 0xb9a8, v197
	v_fma_f16 v219, v219, 2.0, -v200
	v_sub_f16_e64 v192, v187, v192
	v_sub_f16_e64 v193, v189, v193
	v_fma_f16 v191, v191, 2.0, -v218
	v_fma_f16 v194, v194, 2.0, -v196
	v_fma_f16 v188, v188, 2.0, -v222
	v_fma_f16 v190, v190, 2.0, -v223
	v_fma_f16 v187, v187, 2.0, -v192
	v_fma_f16 v189, v189, 2.0, -v193
	global_wb scope:SCOPE_SE
	s_wait_dscnt 0x0
	s_barrier_signal -1
	s_barrier_wait -1
	global_inv scope:SCOPE_SE
	ds_store_b128 v154, v[179:182] offset:16
	ds_store_b128 v146, v[183:186] offset:16384
	v_pack_b32_f16 v182, v219, v191
	v_pack_b32_f16 v181, v220, v194
	;; [unrolled: 1-line block ×4, first 2 shown]
	v_lshrrev_b32_e32 v154, 16, v202
	v_lshrrev_b32_e32 v187, 16, v210
	;; [unrolled: 1-line block ×8, first 2 shown]
	v_pack_b32_f16 v183, v192, v193
	v_sub_f16_e64 v187, v154, v187
	v_sub_f16_e64 v189, v188, v189
	;; [unrolled: 1-line block ×8, first 2 shown]
	v_fma_f16 v188, v188, 2.0, -v189
	v_fma_f16 v194, v194, 2.0, -v192
	;; [unrolled: 1-line block ×3, first 2 shown]
	v_add_f16_e64 v189, v193, v189
	v_add_f16_e64 v192, v197, v192
	v_fma_f16 v201, v208, 2.0, -v199
	v_sub_f16_e64 v199, v191, v199
	v_sub_f16_e64 v195, v187, v195
	v_pack_b32_f16 v186, v200, v218
	v_pack_b32_f16 v185, v221, v196
	v_fma_f16 v154, v154, 2.0, -v187
	v_fma_f16 v190, v190, 2.0, -v191
	;; [unrolled: 1-line block ×8, first 2 shown]
	v_fma_f16 v202, 0x39a8, v192, v189
	v_sub_f16_e64 v188, v154, v188
	v_sub_f16_e64 v201, v200, v201
	v_fma_f16 v204, 0x39a8, v199, v195
	v_fma_f16 v208, 0xb9a8, v197, v193
	;; [unrolled: 1-line block ×3, first 2 shown]
	v_sub_f16_e64 v198, v196, v198
	v_sub_f16_e64 v194, v190, v194
	v_fmac_f16_e64 v202, 0x39a8, v199
	v_fmac_f16_e64 v204, 0xb9a8, v192
	v_sub_f16_e64 v199, v188, v201
	v_fmac_f16_e64 v208, 0x39a8, v191
	v_fmac_f16_e64 v210, 0xb9a8, v197
	v_add_f16_e64 v206, v198, v194
	v_fma_f16 v189, v189, 2.0, -v202
	v_fma_f16 v195, v195, 2.0, -v204
	;; [unrolled: 1-line block ×10, first 2 shown]
	v_pack_b32_f16 v190, v189, v195
	v_sub_f16_e64 v195, v191, v188
	v_pack_b32_f16 v188, v193, v187
	v_sub_f16_e64 v187, v203, v211
	v_sub_f16_e64 v200, v154, v194
	v_pack_b32_f16 v189, v192, v212
	v_lshrrev_b32_e32 v192, 16, v211
	v_lshrrev_b32_e32 v193, 16, v203
	v_fma_f16 v194, v203, 2.0, -v187
	v_lshrrev_b32_e32 v196, 16, v215
	v_lshrrev_b32_e32 v198, 16, v213
	v_sub_f16_e64 v201, v205, v213
	v_lshrrev_b32_e32 v203, 16, v217
	v_lshrrev_b32_e32 v212, 16, v207
	;; [unrolled: 1-line block ×4, first 2 shown]
	v_sub_f16_e64 v197, v207, v215
	v_sub_f16_e64 v211, v209, v217
	;; [unrolled: 1-line block ×6, first 2 shown]
	v_fma_f16 v207, v207, 2.0, -v197
	v_fma_f16 v205, v205, 2.0, -v201
	;; [unrolled: 1-line block ×5, first 2 shown]
	v_add_f16_e64 v215, v187, v196
	v_add_f16_e64 v216, v201, v203
	v_sub_f16_e64 v197, v192, v197
	v_sub_f16_e64 v211, v198, v211
	v_fma_f16 v203, v214, 2.0, -v203
	v_fma_f16 v196, v212, 2.0, -v196
	v_sub_f16_e64 v207, v194, v207
	v_sub_f16_e64 v209, v205, v209
	v_fma_f16 v187, v187, 2.0, -v215
	v_sub_f16_e64 v203, v213, v203
	v_sub_f16_e64 v196, v193, v196
	v_fma_f16 v201, v201, 2.0, -v216
	v_fma_f16 v192, v192, 2.0, -v197
	;; [unrolled: 1-line block ×3, first 2 shown]
	v_fma_f16 v212, 0x39a8, v216, v215
	v_fma_f16 v214, 0x39a8, v211, v197
	v_add_f16_e64 v217, v207, v203
	v_fma_f16 v218, 0xb9a8, v201, v187
	v_fma_f16 v219, 0xb9a8, v198, v192
	v_fma_f16 v194, v194, 2.0, -v207
	v_fma_f16 v193, v193, 2.0, -v196
	;; [unrolled: 1-line block ×4, first 2 shown]
	v_fmac_f16_e64 v212, 0x39a8, v211
	v_fmac_f16_e64 v214, 0xb9a8, v216
	v_sub_f16_e64 v211, v196, v209
	v_fmac_f16_e64 v218, 0x39a8, v198
	v_fmac_f16_e64 v219, 0xb9a8, v201
	v_sub_f16_e64 v205, v194, v205
	v_sub_f16_e64 v203, v193, v203
	v_fma_f16 v191, v191, 2.0, -v195
	v_fma_f16 v154, v154, 2.0, -v200
	;; [unrolled: 1-line block ×10, first 2 shown]
	v_pack_b32_f16 v184, v222, v223
	v_pack_b32_f16 v187, v191, v154
	;; [unrolled: 1-line block ×14, first 2 shown]
	ds_store_b128 v146, v[179:182]
	ds_store_b128 v146, v[183:186] offset:16
	ds_store_b128 v146, v[187:190] offset:32768
	ds_store_b128 v146, v[191:194] offset:49152
	ds_store_b128 v148, v[195:198] offset:16
	ds_store_b128 v151, v[199:202] offset:16
	global_wb scope:SCOPE_SE
	s_wait_dscnt 0x0
	s_barrier_signal -1
	s_barrier_wait -1
	global_inv scope:SCOPE_SE
	ds_load_2addr_stride64_b32 v[179:180], v52 offset0:16 offset1:24
	ds_load_2addr_stride64_b32 v[181:182], v52 offset0:32 offset1:40
	ds_load_2addr_stride64_b32 v[183:184], v52 offset0:48 offset1:56
	ds_load_2addr_stride64_b32 v[185:186], v52 offset0:64 offset1:72
	s_wait_dscnt 0x3
	v_lshrrev_b32_e32 v154, 16, v179
	v_lshrrev_b32_e32 v187, 16, v180
	s_wait_dscnt 0x2
	v_lshrrev_b32_e32 v188, 16, v181
	v_lshrrev_b32_e32 v190, 16, v182
	s_wait_dscnt 0x0
	v_lshrrev_b32_e32 v197, 16, v185
	v_mul_f16_e64 v189, v153, v154
	v_mul_f16_e64 v146, v153, v187
	v_mul_f16_e64 v192, v152, v188
	v_mul_f16_e64 v151, v152, v190
	v_lshrrev_b32_e32 v198, 16, v186
	v_mul_f16_e64 v200, v149, v197
	v_fmac_f16_e64 v189, v13, v179
	v_mul_f16_e64 v191, v153, v179
	v_fmac_f16_e64 v146, v13, v180
	v_mul_f16_e64 v153, v153, v180
	v_lshrrev_b32_e32 v193, 16, v183
	v_lshrrev_b32_e32 v194, 16, v184
	v_fmac_f16_e64 v192, v14, v181
	v_mul_f16_e64 v195, v152, v181
	v_fmac_f16_e64 v151, v14, v182
	ds_load_2addr_stride64_b32 v[179:180], v52 offset0:80 offset1:88
	v_mul_f16_e64 v199, v152, v182
	v_mul_f16_e64 v152, v149, v198
	ds_load_2addr_stride64_b32 v[181:182], v52 offset0:96 offset1:104
	v_fmac_f16_e64 v200, v16, v185
	v_mul_f16_e64 v185, v149, v185
	v_mul_f16_e64 v196, v150, v193
	v_mul_f16_e64 v148, v150, v194
	v_fmac_f16_e64 v152, v16, v186
	v_mul_f16_e64 v202, v149, v186
	v_fma_f16 v197, v16, v197, -v185
	ds_load_2addr_stride64_b32 v[185:186], v52 offset0:128 offset1:136
	v_fmac_f16_e64 v196, v15, v183
	v_fmac_f16_e64 v148, v15, v184
	v_mul_f16_e64 v201, v150, v183
	v_mul_f16_e64 v150, v150, v184
	ds_load_2addr_stride64_b32 v[183:184], v52 offset0:112 offset1:120
	v_fma_f16 v191, v13, v154, -v191
	v_fma_f16 v195, v14, v188, -v195
	;; [unrolled: 1-line block ×3, first 2 shown]
	s_wait_dscnt 0x3
	v_lshrrev_b32_e32 v154, 16, v179
	v_lshrrev_b32_e32 v187, 16, v180
	v_fma_f16 v149, v14, v190, -v199
	v_fma_f16 v14, v15, v194, -v150
	s_wait_dscnt 0x2
	v_lshrrev_b32_e32 v188, 16, v181
	v_lshrrev_b32_e32 v194, 16, v182
	v_fma_f16 v193, v15, v193, -v201
	v_mul_f16_e64 v190, v147, v154
	v_mul_f16_e64 v15, v147, v187
	;; [unrolled: 1-line block ×4, first 2 shown]
	s_wait_dscnt 0x1
	v_lshrrev_b32_e32 v205, 16, v185
	v_fma_f16 v153, v16, v198, -v202
	v_fmac_f16_e64 v190, v9, v179
	v_fmac_f16_e64 v15, v9, v180
	v_mul_f16_e64 v198, v147, v179
	s_wait_dscnt 0x0
	v_lshrrev_b32_e32 v201, 16, v183
	v_mul_f16_e64 v147, v147, v180
	v_lshrrev_b32_e32 v202, 16, v184
	v_fmac_f16_e64 v199, v10, v181
	v_fmac_f16_e64 v150, v10, v182
	v_mul_f16_e64 v204, v145, v181
	v_lshrrev_b32_e32 v206, 16, v186
	ds_load_2addr_stride64_b32 v[179:180], v52 offset0:144 offset1:152
	v_mul_f16_e64 v207, v145, v182
	v_mul_f16_e64 v208, v143, v205
	ds_load_2addr_stride64_b32 v[181:182], v52 offset0:160 offset1:168
	v_mul_f16_e64 v203, v144, v201
	v_mul_f16_e64 v16, v144, v202
	;; [unrolled: 1-line block ×3, first 2 shown]
	v_fmac_f16_e64 v208, v12, v185
	v_mul_f16_e64 v185, v143, v185
	v_fmac_f16_e64 v203, v11, v183
	v_fmac_f16_e64 v16, v11, v184
	v_mul_f16_e64 v209, v144, v183
	v_mul_f16_e64 v144, v144, v184
	v_fmac_f16_e64 v145, v12, v186
	v_mul_f16_e64 v210, v143, v186
	ds_load_2addr_stride64_b32 v[183:184], v52 offset0:176 offset1:184
	v_fma_f16 v205, v12, v205, -v185
	ds_load_2addr_stride64_b32 v[185:186], v52 offset0:192 offset1:200
	v_fma_f16 v198, v9, v154, -v198
	v_fma_f16 v204, v10, v188, -v204
	s_wait_dscnt 0x3
	v_lshrrev_b32_e32 v154, 16, v179
	v_fma_f16 v10, v10, v194, -v207
	v_lshrrev_b32_e32 v194, 16, v180
	s_wait_dscnt 0x2
	v_lshrrev_b32_e32 v207, 16, v181
	v_fma_f16 v201, v11, v201, -v209
	v_fma_f16 v143, v9, v187, -v147
	;; [unrolled: 1-line block ×3, first 2 shown]
	v_mul_f16_e64 v202, v142, v154
	v_mul_f16_e64 v11, v142, v194
	v_fma_f16 v144, v12, v206, -v210
	v_mul_f16_e64 v206, v141, v207
	v_lshrrev_b32_e32 v209, 16, v182
	v_fmac_f16_e64 v202, v5, v179
	v_fmac_f16_e64 v11, v5, v180
	v_mul_f16_e64 v179, v142, v179
	v_mul_f16_e64 v142, v142, v180
	s_wait_dscnt 0x1
	v_lshrrev_b32_e32 v210, 16, v183
	v_lshrrev_b32_e32 v211, 16, v184
	v_fmac_f16_e64 v206, v6, v181
	v_mul_f16_e64 v212, v141, v181
	ds_load_2addr_stride64_b32 v[180:181], v52 offset0:208 offset1:216
	s_wait_dscnt 0x1
	v_lshrrev_b32_e32 v214, 16, v185
	v_lshrrev_b32_e32 v215, 16, v186
	ds_load_2addr_stride64_b32 v[187:188], v52 offset0:224 offset1:232
	v_mul_f16_e64 v147, v141, v209
	v_mul_f16_e64 v213, v140, v210
	;; [unrolled: 1-line block ×6, first 2 shown]
	v_fmac_f16_e64 v147, v6, v182
	v_fmac_f16_e64 v213, v7, v183
	;; [unrolled: 1-line block ×3, first 2 shown]
	v_mul_f16_e64 v218, v140, v183
	v_mul_f16_e64 v140, v140, v184
	v_fmac_f16_e64 v217, v8, v185
	v_fmac_f16_e64 v141, v8, v186
	v_mul_f16_e64 v184, v139, v185
	ds_load_2addr_stride64_b32 v[182:183], v52 offset0:240 offset1:248
	v_mul_f16_e64 v185, v139, v186
	v_fma_f16 v186, v5, v154, -v179
	v_fma_f16 v207, v6, v207, -v212
	;; [unrolled: 1-line block ×4, first 2 shown]
	ds_load_2addr_stride64_b32 v[5:6], v52 offset1:8
	v_fma_f16 v210, v7, v210, -v218
	s_wait_dscnt 0x3
	v_lshrrev_b32_e32 v212, 16, v180
	v_fma_f16 v7, v7, v211, -v140
	s_wait_dscnt 0x2
	v_lshrrev_b32_e32 v211, 16, v187
	v_fma_f16 v179, v8, v215, -v185
	v_lshrrev_b32_e32 v185, 16, v188
	v_fma_f16 v184, v8, v214, -v184
	v_lshrrev_b32_e32 v194, 16, v181
	v_mul_f16_e64 v209, v136, v212
	v_mul_f16_e64 v214, v135, v211
	;; [unrolled: 1-line block ×3, first 2 shown]
	v_sub_f16_e64 v207, v195, v207
	v_mul_f16_e64 v140, v136, v194
	v_fmac_f16_e64 v209, v17, v180
	s_wait_dscnt 0x1
	v_lshrrev_b32_e32 v215, 16, v182
	v_mul_f16_e64 v180, v136, v180
	v_fmac_f16_e64 v214, v18, v187
	v_fmac_f16_e64 v154, v18, v188
	v_mul_f16_e64 v187, v135, v187
	v_mul_f16_e64 v135, v135, v188
	s_wait_dscnt 0x0
	v_lshrrev_b32_e32 v188, 16, v5
	v_fmac_f16_e64 v140, v17, v181
	v_mul_f16_e64 v136, v136, v181
	v_mul_f16_e64 v181, v127, v215
	v_fma_f16 v180, v17, v212, -v180
	v_fma_f16 v187, v18, v211, -v187
	v_sub_f16_e64 v205, v188, v205
	v_sub_f16_e64 v211, v200, v217
	;; [unrolled: 1-line block ×3, first 2 shown]
	v_fmac_f16_e64 v181, v19, v182
	v_mul_f16_e64 v182, v127, v182
	v_sub_f16_e64 v208, v5, v208
	v_sub_f16_e64 v206, v192, v206
	;; [unrolled: 1-line block ×6, first 2 shown]
	v_fma_f16 v182, v19, v215, -v182
	v_fma_f16 v188, v188, 2.0, -v205
	v_add_f16_e64 v214, v206, v187
	v_add_f16_e64 v215, v208, v184
	v_fma_f16 v205, v205, 2.0, -v217
	v_fma_f16 v220, v207, 2.0, -v218
	v_fma_f16 v187, v204, 2.0, -v187
	v_sub_f16_e64 v204, v190, v209
	v_sub_f16_e64 v186, v191, v186
	v_fma_f16 v200, v200, 2.0, -v211
	v_fma_f16 v211, v206, 2.0, -v214
	v_fma_f16 v219, v208, 2.0, -v215
	v_fma_f16 v192, v192, 2.0, -v206
	v_fma_f16 v206, 0xb9a8, v220, v205
	v_fma_f16 v195, v195, 2.0, -v207
	v_sub_f16_e64 v202, v189, v202
	v_sub_f16_e64 v180, v198, v180
	v_sub_f16_e64 v207, v196, v213
	v_sub_f16_e64 v182, v201, v182
	v_sub_f16_e64 v209, v193, v210
	v_sub_f16_e64 v181, v203, v181
	v_fma_f16 v190, v190, 2.0, -v204
	v_sub_f16_e64 v204, v186, v204
	v_fma_f16 v184, v197, 2.0, -v184
	v_fma_f16 v197, 0xb9a8, v211, v219
	v_fma_f16 v199, v199, 2.0, -v212
	v_fmac_f16_e64 v206, 0xb9a8, v211
	v_fma_f16 v189, v189, 2.0, -v202
	v_add_f16_e64 v210, v202, v180
	v_add_f16_e64 v211, v207, v182
	v_sub_f16_e64 v212, v209, v181
	v_fma_f16 v180, v198, 2.0, -v180
	v_fma_f16 v213, v186, 2.0, -v204
	;; [unrolled: 1-line block ×8, first 2 shown]
	v_fmac_f16_e64 v197, 0x39a8, v220
	v_fma_f16 v198, v202, 2.0, -v210
	v_fma_f16 v202, v207, 2.0, -v211
	;; [unrolled: 1-line block ×3, first 2 shown]
	v_sub_f16_e64 v193, v5, v200
	v_sub_f16_e64 v184, v188, v184
	;; [unrolled: 1-line block ×8, first 2 shown]
	v_fma_f16 v201, 0xb9a8, v202, v198
	v_fma_f16 v203, 0xb9a8, v220, v213
	v_fma_f16 v5, v5, 2.0, -v193
	v_fma_f16 v188, v188, 2.0, -v184
	;; [unrolled: 1-line block ×8, first 2 shown]
	v_fmac_f16_e64 v201, 0x39a8, v220
	v_fmac_f16_e64 v203, 0xb9a8, v202
	v_sub_f16_e64 v192, v5, v192
	v_sub_f16_e64 v195, v188, v195
	;; [unrolled: 1-line block ×4, first 2 shown]
	v_lshrrev_b32_e32 v216, 16, v183
	v_fma_f16 v200, v219, 2.0, -v197
	v_fma_f16 v198, v198, 2.0, -v201
	;; [unrolled: 1-line block ×8, first 2 shown]
	v_mul_f16_e64 v8, v127, v216
	v_fma_f16 v207, 0xbb64, v198, v200
	v_fma_f16 v208, 0xbb64, v205, v202
	v_sub_f16_e64 v189, v5, v189
	v_sub_f16_e64 v186, v188, v186
	v_fmac_f16_e64 v8, v19, v183
	v_fmac_f16_e64 v207, 0x361f, v205
	;; [unrolled: 1-line block ×3, first 2 shown]
	v_mul_f16_e64 v127, v127, v183
	v_fma_f16 v5, v5, 2.0, -v189
	v_fma_f16 v183, v188, 2.0, -v186
	;; [unrolled: 1-line block ×4, first 2 shown]
	v_fma_f16 v17, v17, v194, -v136
	v_fma_f16 v18, v18, v185, -v135
	v_pack_b32_f16 v5, v5, v183
	v_fma_f16 v135, 0x39a8, v214, v215
	v_fma_f16 v136, 0x39a8, v218, v217
	;; [unrolled: 1-line block ×4, first 2 shown]
	v_fma_f16 v19, v19, v216, -v127
	v_pack_b32_f16 v127, v188, v198
	v_fmac_f16_e64 v135, 0x39a8, v218
	v_fmac_f16_e64 v136, 0xb9a8, v214
	v_fmac_f16_e64 v183, 0x39a8, v212
	v_add_f16_e64 v187, v193, v187
	v_add_f16_e64 v182, v190, v182
	v_sub_f16_e64 v188, v184, v199
	v_sub_f16_e64 v181, v180, v181
	v_fmac_f16_e64 v185, 0xb9a8, v211
	v_fma_f16 v193, v193, 2.0, -v187
	v_fma_f16 v190, v190, 2.0, -v182
	;; [unrolled: 1-line block ×8, first 2 shown]
	v_fma_f16 v202, 0xb9a8, v190, v193
	v_fma_f16 v204, 0xb9a8, v180, v184
	;; [unrolled: 1-line block ×3, first 2 shown]
	global_wb scope:SCOPE_SE
	v_fma_f16 v209, 0xb61f, v200, v199
	v_fmac_f16_e64 v202, 0x39a8, v180
	v_fmac_f16_e64 v204, 0xb9a8, v190
	;; [unrolled: 1-line block ×3, first 2 shown]
	s_barrier_signal -1
	v_fmac_f16_e64 v209, 0xbb64, v198
	s_barrier_wait -1
	global_inv scope:SCOPE_SE
	ds_store_2addr_b32 v137, v5, v127 offset1:8
	v_fma_f16 v5, v193, 2.0, -v202
	v_fma_f16 v127, v184, 2.0, -v204
	;; [unrolled: 1-line block ×4, first 2 shown]
	v_fma_f16 v190, 0x361f, v201, v197
	v_fma_f16 v193, 0x361f, v203, v206
	v_pack_b32_f16 v5, v5, v127
	v_fma_f16 v127, 0x39a8, v182, v187
	v_pack_b32_f16 v180, v180, v184
	v_fma_f16 v184, 0x39a8, v181, v188
	v_fmac_f16_e64 v190, 0x3b64, v203
	v_fmac_f16_e64 v193, 0xbb64, v201
	;; [unrolled: 1-line block ×3, first 2 shown]
	v_fma_f16 v181, 0x3b64, v183, v135
	v_fmac_f16_e64 v184, 0xb9a8, v182
	v_fma_f16 v182, 0x3b64, v185, v136
	v_add_f16_e64 v191, v192, v191
	v_sub_f16_e64 v194, v195, v196
	v_fmac_f16_e64 v181, 0x361f, v185
	v_fma_f16 v187, v187, 2.0, -v127
	v_fmac_f16_e64 v182, 0xb61f, v183
	v_fma_f16 v185, v192, 2.0, -v191
	v_fma_f16 v192, v195, 2.0, -v194
	;; [unrolled: 1-line block ×7, first 2 shown]
	ds_store_2addr_b32 v137, v5, v180 offset0:16 offset1:24
	v_pack_b32_f16 v5, v185, v192
	v_pack_b32_f16 v180, v195, v183
	;; [unrolled: 1-line block ×4, first 2 shown]
	ds_store_2addr_b32 v137, v5, v180 offset0:32 offset1:40
	ds_store_2addr_b32 v137, v183, v135 offset0:48 offset1:56
	v_lshrrev_b32_e32 v5, 16, v6
	v_pack_b32_f16 v136, v189, v186
	v_pack_b32_f16 v185, v207, v208
	v_sub_f16_e64 v135, v152, v141
	v_sub_f16_e64 v142, v149, v142
	;; [unrolled: 1-line block ×6, first 2 shown]
	ds_store_2addr_b32 v137, v136, v185 offset0:64 offset1:72
	v_sub_f16_e64 v136, v153, v179
	v_sub_f16_e32 v18, v10, v18
	v_fma_f16 v152, v152, 2.0, -v135
	v_sub_f16_e64 v135, v141, v135
	v_sub_f16_e64 v180, v142, v147
	v_add_f16_e64 v154, v145, v136
	v_add_f16_e64 v179, v144, v18
	v_fma_f16 v6, v6, 2.0, -v145
	v_fma_f16 v183, v141, 2.0, -v135
	;; [unrolled: 1-line block ×8, first 2 shown]
	v_fma_f16 v150, 0xb9a8, v185, v183
	v_sub_f16_e64 v11, v146, v11
	v_sub_f16_e64 v17, v143, v17
	;; [unrolled: 1-line block ×3, first 2 shown]
	v_sub_f16_e32 v19, v9, v19
	v_fma_f16 v144, v151, 2.0, -v144
	v_fma_f16 v151, 0x39a8, v179, v154
	v_fma_f16 v5, v5, 2.0, -v141
	v_fma_f16 v141, v149, 2.0, -v142
	v_fma_f16 v142, 0x39a8, v180, v135
	v_sub_f16_e64 v140, v15, v140
	v_sub_f16_e64 v139, v13, v139
	v_sub_f16_e32 v7, v14, v7
	v_sub_f16_e32 v8, v16, v8
	v_fma_f16 v147, 0xb9a8, v153, v145
	v_fmac_f16_e64 v150, 0xb9a8, v153
	v_add_f16_e64 v149, v11, v17
	v_add_f16_e64 v153, v12, v19
	v_fmac_f16_e64 v151, 0x39a8, v180
	v_fmac_f16_e64 v142, 0xb9a8, v179
	v_sub_f16_e64 v179, v139, v140
	v_sub_f16_e64 v180, v7, v8
	v_fmac_f16_e64 v147, 0x39a8, v185
	v_fma_f16 v185, v11, 2.0, -v149
	v_fma_f16 v186, v12, 2.0, -v153
	;; [unrolled: 1-line block ×6, first 2 shown]
	v_fma_f16 v140, 0xb9a8, v186, v185
	v_fma_f16 v17, v143, 2.0, -v17
	v_fma_f16 v9, v9, 2.0, -v19
	v_fma_f16 v143, 0xb9a8, v187, v146
	v_fma_f16 v8, v16, 2.0, -v8
	v_fmac_f16_e64 v140, 0x39a8, v187
	v_fma_f16 v16, v145, 2.0, -v147
	v_fma_f16 v145, v183, 2.0, -v150
	v_fmac_f16_e64 v143, 0xb9a8, v186
	v_fma_f16 v7, v14, 2.0, -v7
	v_fma_f16 v19, v185, 2.0, -v140
	;; [unrolled: 1-line block ×5, first 2 shown]
	v_sub_f16_e64 v18, v144, v18
	v_fma_f16 v183, 0xbb64, v19, v16
	v_sub_f16_e64 v10, v141, v10
	v_sub_f16_e32 v15, v11, v15
	v_fma_f16 v14, 0xbb64, v146, v145
	v_sub_f16_e32 v9, v7, v9
	v_fmac_f16_e64 v183, 0x361f, v146
	v_sub_f16_e64 v146, v6, v152
	v_sub_f16_e32 v17, v13, v17
	v_fmac_f16_e32 v14, 0xb61f, v19
	v_sub_f16_e64 v19, v5, v136
	v_sub_f16_e32 v8, v12, v8
	v_fma_f16 v148, 0x39a8, v180, v179
	v_fma_f16 v136, v144, 2.0, -v18
	v_fma_f16 v141, v141, 2.0, -v10
	v_add_f16_e64 v10, v146, v10
	v_add_f16_e64 v144, v15, v9
	v_fma_f16 v139, 0x39a8, v153, v149
	v_sub_f16_e32 v18, v19, v18
	v_sub_f16_e64 v152, v17, v8
	v_fmac_f16_e64 v148, 0xb9a8, v153
	v_fma_f16 v6, v6, 2.0, -v146
	v_fma_f16 v11, v11, 2.0, -v15
	;; [unrolled: 1-line block ×8, first 2 shown]
	v_fmac_f16_e64 v139, 0x39a8, v180
	v_fma_f16 v153, v19, 2.0, -v18
	v_fma_f16 v180, v17, 2.0, -v152
	v_fma_f16 v9, 0xb9a8, v15, v146
	v_fma_f16 v19, v154, 2.0, -v151
	v_fma_f16 v135, v135, 2.0, -v142
	;; [unrolled: 1-line block ×3, first 2 shown]
	v_sub_f16_e64 v136, v6, v136
	v_sub_f16_e64 v141, v5, v141
	v_sub_f16_e32 v8, v11, v8
	v_sub_f16_e32 v7, v13, v7
	v_fma_f16 v12, 0xb9a8, v180, v153
	v_fma_f16 v149, v149, 2.0, -v139
	v_fmac_f16_e64 v9, 0x39a8, v180
	v_fma_f16 v17, 0xb61f, v154, v135
	v_fma_f16 v179, 0x361f, v140, v147
	;; [unrolled: 1-line block ×3, first 2 shown]
	v_fma_f16 v6, v6, 2.0, -v136
	v_fma_f16 v5, v5, 2.0, -v141
	;; [unrolled: 1-line block ×4, first 2 shown]
	v_fmac_f16_e32 v12, 0xb9a8, v15
	v_fma_f16 v15, 0xb61f, v149, v19
	v_fma_f16 v185, 0x39a8, v144, v10
	v_fmac_f16_e64 v17, 0xbb64, v149
	v_fmac_f16_e64 v179, 0x3b64, v143
	;; [unrolled: 1-line block ×3, first 2 shown]
	v_fma_f16 v140, 0x39a8, v152, v18
	v_fma_f16 v143, 0x3b64, v139, v151
	;; [unrolled: 1-line block ×3, first 2 shown]
	v_sub_f16_e32 v11, v6, v11
	v_sub_f16_e32 v13, v5, v13
	v_fmac_f16_e64 v15, 0x3b64, v154
	v_add_f16_e64 v7, v136, v7
	v_sub_f16_e64 v8, v141, v8
	v_fmac_f16_e64 v185, 0x39a8, v152
	v_fmac_f16_e64 v140, 0xb9a8, v144
	;; [unrolled: 1-line block ×4, first 2 shown]
	v_pack_b32_f16 v139, v202, v204
	v_pack_b32_f16 v144, v205, v209
	v_fma_f16 v6, v6, 2.0, -v11
	v_fma_f16 v5, v5, 2.0, -v13
	;; [unrolled: 1-line block ×16, first 2 shown]
	ds_store_2addr_b32 v137, v139, v144 offset0:80 offset1:88
	v_pack_b32_f16 v139, v191, v194
	v_pack_b32_f16 v144, v190, v193
	;; [unrolled: 1-line block ×10, first 2 shown]
	ds_store_2addr_b32 v137, v139, v144 offset0:96 offset1:104
	ds_store_2addr_b32 v137, v127, v152 offset0:112 offset1:120
	ds_store_2addr_b32 v138, v5, v6 offset1:8
	ds_store_2addr_b32 v138, v16, v19 offset0:16 offset1:24
	ds_store_2addr_b32 v138, v135, v136 offset0:32 offset1:40
	v_pack_b32_f16 v5, v10, v18
	v_pack_b32_f16 v6, v151, v142
	;; [unrolled: 1-line block ×10, first 2 shown]
	ds_store_2addr_b32 v138, v5, v6 offset0:48 offset1:56
	ds_store_2addr_b32 v138, v10, v11 offset0:64 offset1:72
	;; [unrolled: 1-line block ×5, first 2 shown]
	global_wb scope:SCOPE_SE
	s_wait_dscnt 0x0
	s_barrier_signal -1
	s_barrier_wait -1
	global_inv scope:SCOPE_SE
	ds_load_2addr_stride64_b32 v[5:6], v52 offset0:64 offset1:72
	ds_load_2addr_stride64_b32 v[7:8], v52 offset0:128 offset1:136
	;; [unrolled: 1-line block ×8, first 2 shown]
	s_wait_dscnt 0x7
	v_lshrrev_b32_e32 v19, 16, v5
	v_lshrrev_b32_e32 v137, 16, v6
	v_mul_f16_e64 v152, v134, v5
	v_mul_f16_e64 v179, v134, v6
	s_wait_dscnt 0x6
	v_lshrrev_b32_e32 v127, 16, v7
	v_mul_f16_e64 v147, v134, v19
	v_mul_f16_e64 v151, v134, v137
	v_lshrrev_b32_e32 v138, 16, v8
	s_wait_dscnt 0x5
	v_lshrrev_b32_e32 v139, 16, v9
	s_wait_dscnt 0x4
	v_lshrrev_b32_e32 v140, 16, v11
	v_fmac_f16_e64 v147, v20, v5
	v_fmac_f16_e64 v151, v20, v6
	ds_load_2addr_stride64_b32 v[5:6], v52 offset0:192 offset1:200
	v_lshrrev_b32_e32 v141, 16, v10
	v_lshrrev_b32_e32 v142, 16, v12
	s_wait_dscnt 0x4
	v_lshrrev_b32_e32 v143, 16, v13
	v_lshrrev_b32_e32 v145, 16, v14
	s_wait_dscnt 0x2
	v_lshrrev_b32_e32 v148, 16, v17
	v_mul_f16_e64 v149, v129, v127
	v_lshrrev_b32_e32 v150, 16, v18
	v_mul_f16_e64 v153, v129, v138
	v_mul_f16_e64 v154, v129, v7
	;; [unrolled: 1-line block ×3, first 2 shown]
	v_fmac_f16_e64 v149, v21, v7
	v_mul_f16_e64 v181, v129, v8
	v_fmac_f16_e64 v153, v21, v8
	v_mul_f16_e64 v182, v129, v140
	v_mul_f16_e64 v183, v134, v141
	;; [unrolled: 1-line block ×7, first 2 shown]
	ds_load_2addr_stride64_b32 v[7:8], v52 offset0:208 offset1:216
	v_fmac_f16_e64 v180, v20, v9
	v_mul_f16_e64 v184, v134, v9
	v_fmac_f16_e64 v182, v21, v11
	v_fmac_f16_e64 v183, v20, v10
	v_mul_f16_e64 v186, v134, v10
	v_fmac_f16_e64 v185, v20, v13
	v_mul_f16_e64 v13, v134, v13
	;; [unrolled: 2-line block ×5, first 2 shown]
	v_mul_f16_e64 v134, v129, v11
	v_fmac_f16_e64 v187, v21, v12
	v_mul_f16_e64 v195, v129, v12
	ds_load_2addr_stride64_b32 v[9:10], v52 offset0:224 offset1:232
	s_wait_dscnt 0x2
	v_lshrrev_b32_e32 v198, 16, v5
	ds_load_2addr_stride64_b32 v[11:12], v52 offset0:240 offset1:248
	v_lshrrev_b32_e32 v199, 16, v6
	v_lshrrev_b32_e32 v144, 16, v15
	;; [unrolled: 1-line block ×3, first 2 shown]
	v_mul_f16_e64 v200, v123, v198
	v_lshrrev_b32_e32 v193, 16, v135
	v_mul_f16_e64 v203, v123, v199
	v_lshrrev_b32_e32 v194, 16, v136
	v_mul_f16_e64 v205, v123, v5
	v_fmac_f16_e64 v200, v22, v5
	v_mul_f16_e64 v206, v123, v6
	v_fmac_f16_e64 v203, v22, v6
	ds_load_2addr_stride64_b32 v[5:6], v52 offset1:8
	v_mul_f16_e64 v190, v129, v144
	v_mul_f16_e64 v192, v129, v146
	;; [unrolled: 1-line block ×4, first 2 shown]
	s_wait_dscnt 0x3
	v_lshrrev_b32_e32 v201, 16, v7
	v_fmac_f16_e64 v190, v21, v15
	v_mul_f16_e64 v15, v129, v15
	v_fmac_f16_e64 v192, v21, v16
	v_mul_f16_e64 v16, v129, v16
	v_fmac_f16_e64 v196, v21, v135
	v_fmac_f16_e64 v197, v21, v136
	v_mul_f16_e64 v135, v129, v135
	v_lshrrev_b32_e32 v202, 16, v8
	v_mul_f16_e64 v129, v129, v136
	v_mul_f16_e64 v136, v123, v201
	s_wait_dscnt 0x2
	v_lshrrev_b32_e32 v207, 16, v9
	v_lshrrev_b32_e32 v208, 16, v10
	s_wait_dscnt 0x1
	v_lshrrev_b32_e32 v210, 16, v11
	v_lshrrev_b32_e32 v211, 16, v12
	v_mul_f16_e64 v204, v123, v202
	v_fmac_f16_e64 v136, v22, v7
	v_mul_f16_e32 v7, v123, v7
	v_mul_f16_e64 v209, v123, v207
	v_mul_f16_e64 v212, v123, v208
	;; [unrolled: 1-line block ×4, first 2 shown]
	v_fmac_f16_e64 v204, v22, v8
	v_mul_f16_e32 v8, v123, v8
	v_fmac_f16_e64 v209, v22, v9
	v_fmac_f16_e64 v212, v22, v10
	v_mul_f16_e32 v9, v123, v9
	v_mul_f16_e32 v10, v123, v10
	v_fmac_f16_e64 v213, v22, v11
	v_fmac_f16_e64 v214, v22, v12
	v_mul_f16_e32 v11, v123, v11
	v_mul_f16_e32 v12, v123, v12
	v_fma_f16 v19, v20, v19, -v152
	v_fma_f16 v123, v21, v127, -v154
	;; [unrolled: 1-line block ×5, first 2 shown]
	s_wait_dscnt 0x0
	v_lshrrev_b32_e32 v7, 16, v5
	v_fma_f16 v154, v22, v202, -v8
	v_fma_f16 v13, v20, v143, -v13
	;; [unrolled: 1-line block ×3, first 2 shown]
	v_sub_f16_e64 v8, v147, v200
	v_sub_f16_e32 v9, v7, v123
	v_sub_f16_e64 v123, v5, v149
	v_sub_f16_e32 v127, v19, v127
	v_fma_f16 v15, v21, v144, -v15
	v_fma_f16 v16, v21, v146, -v16
	v_fma_f16 v144, v7, 2.0, -v9
	v_fma_f16 v7, v147, 2.0, -v8
	;; [unrolled: 1-line block ×4, first 2 shown]
	v_add_f16_e32 v127, v123, v127
	v_sub_f16_e64 v147, v9, v8
	v_fma_f16 v17, v20, v148, -v17
	v_sub_f16_e64 v146, v5, v7
	v_sub_f16_e64 v19, v144, v19
	ds_load_2addr_stride64_b32 v[7:8], v52 offset0:16 offset1:24
	v_fma_f16 v148, v22, v210, -v11
	v_fma_f16 v123, v123, 2.0, -v127
	v_fma_f16 v5, v5, 2.0, -v146
	;; [unrolled: 1-line block ×4, first 2 shown]
	v_fma_f16 v137, v20, v137, -v179
	v_fma_f16 v138, v21, v138, -v181
	;; [unrolled: 1-line block ×12, first 2 shown]
	v_pack_b32_f16 v5, v5, v11
	v_pack_b32_f16 v22, v123, v144
	ds_load_2addr_stride64_b32 v[9:10], v52 offset0:32 offset1:40
	ds_load_2addr_stride64_b32 v[11:12], v52 offset0:48 offset1:56
	global_wb scope:SCOPE_SE
	s_wait_dscnt 0x0
	s_barrier_signal -1
	s_barrier_wait -1
	global_inv scope:SCOPE_SE
	ds_store_2addr_stride64_b32 v124, v5, v22 offset1:2
	v_lshrrev_b32_e32 v5, 16, v6
	v_sub_f16_e64 v123, v6, v153
	v_sub_f16_e64 v22, v7, v182
	v_lshrrev_b32_e32 v144, 16, v7
	v_sub_f16_e64 v182, v151, v203
	v_sub_f16_e64 v138, v5, v138
	;; [unrolled: 1-line block ×3, first 2 shown]
	v_fma_f16 v6, v6, 2.0, -v123
	v_sub_f16_e64 v134, v144, v134
	v_fma_f16 v151, v151, 2.0, -v182
	v_fma_f16 v5, v5, 2.0, -v138
	;; [unrolled: 1-line block ×3, first 2 shown]
	v_sub_f16_e64 v140, v139, v140
	v_pack_b32_f16 v19, v146, v19
	v_sub_f16_e64 v151, v6, v151
	v_sub_f16_e64 v136, v180, v136
	v_sub_f16_e64 v137, v5, v137
	v_add_f16_e64 v146, v123, v152
	v_sub_f16_e64 v152, v138, v182
	v_fma_f16 v144, v144, 2.0, -v134
	v_fma_f16 v139, v139, 2.0, -v140
	v_lshrrev_b32_e32 v149, 16, v8
	v_fma_f16 v7, v7, 2.0, -v22
	v_fma_f16 v6, v6, 2.0, -v151
	;; [unrolled: 1-line block ×6, first 2 shown]
	v_sub_f16_e64 v139, v144, v139
	v_pack_b32_f16 v127, v127, v147
	v_sub_f16_e64 v147, v7, v180
	v_pack_b32_f16 v5, v6, v5
	v_pack_b32_f16 v6, v123, v138
	;; [unrolled: 1-line block ×3, first 2 shown]
	v_fma_f16 v137, v144, 2.0, -v139
	v_add_f16_e64 v138, v22, v140
	v_sub_f16_e64 v140, v149, v142
	v_sub_f16_e64 v144, v141, v154
	;; [unrolled: 1-line block ×5, first 2 shown]
	v_lshrrev_b32_e32 v179, 16, v9
	v_fma_f16 v7, v7, 2.0, -v147
	v_fma_f16 v149, v149, 2.0, -v140
	;; [unrolled: 1-line block ×4, first 2 shown]
	v_lshrrev_b32_e32 v181, 16, v10
	v_fma_f16 v22, v22, 2.0, -v138
	v_fma_f16 v134, v134, 2.0, -v136
	v_fma_f16 v151, v183, 2.0, -v142
	v_lshrrev_b32_e32 v187, 16, v11
	v_pack_b32_f16 v7, v7, v137
	v_sub_f16_e64 v137, v149, v141
	v_sub_f16_e64 v15, v179, v15
	;; [unrolled: 1-line block ×3, first 2 shown]
	v_pack_b32_f16 v136, v138, v136
	v_sub_f16_e64 v138, v185, v209
	v_sub_f16_e64 v143, v13, v143
	v_lshrrev_b32_e32 v190, 16, v12
	v_sub_f16_e64 v153, v10, v192
	v_pack_b32_f16 v22, v22, v134
	v_sub_f16_e64 v134, v8, v151
	v_sub_f16_e64 v151, v188, v212
	;; [unrolled: 1-line block ×5, first 2 shown]
	v_fma_f16 v141, v149, 2.0, -v137
	v_fma_f16 v149, v179, 2.0, -v15
	v_sub_f16_e64 v135, v187, v135
	v_sub_f16_e64 v179, v189, v213
	;; [unrolled: 1-line block ×3, first 2 shown]
	v_fma_f16 v9, v9, 2.0, -v150
	v_pack_b32_f16 v139, v147, v139
	v_fma_f16 v147, v185, 2.0, -v138
	v_fma_f16 v13, v13, 2.0, -v143
	v_sub_f16_e64 v186, v12, v197
	v_sub_f16_e64 v20, v190, v20
	;; [unrolled: 1-line block ×3, first 2 shown]
	v_sub_f16_e32 v21, v18, v21
	v_fma_f16 v10, v10, 2.0, -v153
	v_pack_b32_f16 v146, v146, v152
	v_fma_f16 v152, v188, 2.0, -v151
	v_fma_f16 v154, v181, 2.0, -v16
	;; [unrolled: 1-line block ×3, first 2 shown]
	v_add_f16_e64 v144, v129, v144
	v_sub_f16_e64 v142, v140, v142
	v_fma_f16 v11, v11, 2.0, -v184
	v_fma_f16 v180, v187, 2.0, -v135
	;; [unrolled: 1-line block ×4, first 2 shown]
	v_sub_f16_e64 v147, v9, v147
	v_sub_f16_e64 v13, v149, v13
	v_add_f16_e64 v143, v150, v143
	v_sub_f16_e64 v138, v15, v138
	v_fma_f16 v12, v12, 2.0, -v186
	v_fma_f16 v183, v190, 2.0, -v20
	v_fma_f16 v185, v191, 2.0, -v182
	v_fma_f16 v18, v18, 2.0, -v21
	v_sub_f16_e64 v152, v10, v152
	v_sub_f16_e64 v14, v154, v14
	v_add_f16_e64 v145, v153, v145
	v_sub_f16_e64 v151, v16, v151
	v_fma_f16 v8, v8, 2.0, -v134
	v_fma_f16 v129, v129, 2.0, -v144
	;; [unrolled: 1-line block ×3, first 2 shown]
	v_sub_f16_e64 v181, v11, v181
	v_sub_f16_e64 v17, v180, v17
	v_add_f16_e64 v148, v184, v148
	v_sub_f16_e64 v179, v135, v179
	v_fma_f16 v9, v9, 2.0, -v147
	v_fma_f16 v149, v149, 2.0, -v13
	;; [unrolled: 1-line block ×4, first 2 shown]
	v_sub_f16_e64 v185, v12, v185
	v_sub_f16_e64 v18, v183, v18
	v_add_f16_e64 v21, v186, v21
	v_sub_f16_e64 v182, v20, v182
	v_fma_f16 v10, v10, 2.0, -v152
	v_fma_f16 v154, v154, 2.0, -v14
	;; [unrolled: 1-line block ×4, first 2 shown]
	ds_store_2addr_stride64_b32 v124, v19, v127 offset0:4 offset1:6
	ds_store_2addr_stride64_b32 v125, v5, v6 offset1:2
	ds_store_2addr_stride64_b32 v125, v123, v146 offset0:4 offset1:6
	ds_store_2addr_stride64_b32 v126, v7, v22 offset1:2
	ds_store_2addr_stride64_b32 v126, v139, v136 offset0:4 offset1:6
	v_pack_b32_f16 v5, v8, v141
	v_pack_b32_f16 v6, v129, v140
	v_fma_f16 v11, v11, 2.0, -v181
	v_fma_f16 v180, v180, 2.0, -v17
	;; [unrolled: 1-line block ×4, first 2 shown]
	v_pack_b32_f16 v7, v134, v137
	v_pack_b32_f16 v8, v144, v142
	;; [unrolled: 1-line block ×4, first 2 shown]
	v_fma_f16 v12, v12, 2.0, -v185
	v_fma_f16 v183, v183, 2.0, -v18
	;; [unrolled: 1-line block ×4, first 2 shown]
	v_pack_b32_f16 v13, v147, v13
	v_pack_b32_f16 v19, v143, v138
	;; [unrolled: 1-line block ×4, first 2 shown]
	ds_store_2addr_stride64_b32 v128, v5, v6 offset1:2
	ds_store_2addr_stride64_b32 v128, v7, v8 offset0:4 offset1:6
	ds_store_2addr_stride64_b32 v130, v9, v15 offset1:2
	ds_store_2addr_stride64_b32 v130, v13, v19 offset0:4 offset1:6
	ds_store_2addr_stride64_b32 v131, v10, v16 offset1:2
	v_pack_b32_f16 v5, v152, v14
	v_pack_b32_f16 v6, v145, v151
	;; [unrolled: 1-line block ×10, first 2 shown]
	ds_store_2addr_stride64_b32 v131, v5, v6 offset0:4 offset1:6
	ds_store_2addr_stride64_b32 v132, v7, v8 offset1:2
	ds_store_2addr_stride64_b32 v132, v9, v10 offset0:4 offset1:6
	ds_store_2addr_stride64_b32 v133, v11, v12 offset1:2
	ds_store_2addr_stride64_b32 v133, v13, v14 offset0:4 offset1:6
	global_wb scope:SCOPE_SE
	s_wait_dscnt 0x0
	s_barrier_signal -1
	s_barrier_wait -1
	global_inv scope:SCOPE_SE
	ds_load_2addr_stride64_b32 v[5:6], v52 offset0:32 offset1:40
	ds_load_2addr_stride64_b32 v[7:8], v52 offset0:64 offset1:72
	;; [unrolled: 1-line block ×7, first 2 shown]
	ds_load_2addr_stride64_b32 v[19:20], v52 offset1:8
	ds_load_2addr_stride64_b32 v[21:22], v52 offset0:48 offset1:56
	ds_load_2addr_stride64_b32 v[123:124], v52 offset0:80 offset1:88
	;; [unrolled: 1-line block ×7, first 2 shown]
	s_wait_dscnt 0xe
	v_lshrrev_b32_e32 v135, 16, v5
	s_wait_dscnt 0xd
	v_lshrrev_b32_e32 v136, 16, v7
	;; [unrolled: 2-line block ×3, first 2 shown]
	v_lshrrev_b32_e32 v142, 16, v6
	v_mul_f16_e64 v181, v122, v5
	v_mul_f16_e64 v184, v121, v7
	v_lshrrev_b32_e32 v143, 16, v8
	v_mul_f16_e64 v180, v122, v135
	v_mul_f16_e64 v185, v121, v136
	v_fma_f16 v135, v1, v135, -v181
	v_mul_f16_e64 v181, v122, v142
	v_fma_f16 v136, v2, v136, -v184
	v_mul_f16_e64 v184, v120, v137
	s_wait_dscnt 0xb
	v_lshrrev_b32_e32 v138, 16, v11
	v_lshrrev_b32_e32 v144, 16, v10
	v_fmac_f16_e64 v180, v1, v5
	v_mul_f16_e32 v5, v120, v9
	v_fmac_f16_e64 v181, v1, v6
	v_mul_f16_e32 v6, v122, v6
	v_mul_f16_e64 v186, v119, v11
	v_fmac_f16_e64 v184, v3, v9
	v_mul_f16_e64 v9, v121, v143
	v_lshrrev_b32_e32 v145, 16, v12
	s_wait_dscnt 0x6
	v_lshrrev_b32_e32 v149, 16, v21
	v_fmac_f16_e64 v185, v2, v7
	v_fma_f16 v7, v3, v137, -v5
	v_fma_f16 v137, v4, v138, -v186
	;; [unrolled: 1-line block ×3, first 2 shown]
	v_mul_f16_e32 v5, v121, v8
	v_mul_f16_e64 v138, v119, v138
	v_fmac_f16_e32 v9, v2, v8
	v_mul_f16_e64 v8, v120, v144
	v_mul_f16_e32 v6, v120, v10
	s_wait_dscnt 0x5
	v_lshrrev_b32_e32 v150, 16, v123
	s_wait_dscnt 0x4
	v_lshrrev_b32_e32 v151, 16, v125
	v_lshrrev_b32_e32 v179, 16, v124
	v_mul_f16_e64 v186, v119, v145
	v_fmac_f16_e64 v138, v4, v11
	v_fmac_f16_e32 v8, v3, v10
	v_fma_f16 v10, v3, v144, -v6
	v_mul_f16_e64 v11, v122, v149
	v_mul_f16_e32 v6, v122, v21
	s_wait_dscnt 0x3
	v_lshrrev_b32_e32 v152, 16, v127
	v_lshrrev_b32_e32 v183, 16, v128
	v_fma_f16 v143, v2, v143, -v5
	v_mul_f16_e32 v5, v119, v12
	v_fmac_f16_e64 v186, v4, v12
	v_mul_f16_e64 v12, v121, v150
	v_fmac_f16_e32 v11, v1, v21
	v_fma_f16 v21, v1, v149, -v6
	v_mul_f16_e64 v149, v120, v151
	v_mul_f16_e64 v187, v121, v179
	v_lshrrev_b32_e32 v154, 16, v22
	v_fma_f16 v144, v4, v145, -v5
	v_fmac_f16_e32 v12, v2, v123
	v_mul_f16_e32 v5, v121, v123
	v_fmac_f16_e64 v149, v3, v125
	v_fmac_f16_e64 v187, v2, v124
	v_mul_f16_e32 v121, v121, v124
	v_mul_f16_e32 v123, v120, v125
	v_mul_f16_e64 v124, v119, v152
	v_mul_f16_e64 v125, v119, v183
	v_lshrrev_b32_e32 v139, 16, v13
	v_mul_f16_e64 v145, v122, v154
	v_fma_f16 v150, v2, v150, -v5
	v_fmac_f16_e32 v124, v4, v127
	v_mul_f16_e32 v127, v119, v127
	v_fmac_f16_e64 v125, v4, v128
	v_mul_f16_e64 v119, v119, v128
	ds_load_2addr_stride64_b32 v[5:6], v52 offset0:240 offset1:248
	v_mul_f16_e64 v128, v117, v13
	v_lshrrev_b32_e32 v146, 16, v14
	v_lshrrev_b32_e32 v182, 16, v126
	v_fmac_f16_e64 v145, v1, v22
	v_mul_f16_e32 v22, v122, v22
	v_fma_f16 v128, v23, v139, -v128
	v_mul_f16_e64 v139, v117, v139
	v_lshrrev_b32_e32 v140, 16, v15
	s_wait_dscnt 0x3
	v_lshrrev_b32_e32 v153, 16, v129
	v_mul_f16_e64 v122, v120, v182
	v_mul_f16_e32 v120, v120, v126
	v_fma_f16 v123, v3, v151, -v123
	v_mul_f16_e64 v151, v118, v15
	v_fma_f16 v1, v1, v154, -v22
	v_lshrrev_b32_e32 v22, 16, v130
	v_fmac_f16_e64 v139, v23, v13
	v_mul_f16_e64 v13, v117, v146
	v_lshrrev_b32_e32 v141, 16, v17
	v_lshrrev_b32_e32 v147, 16, v16
	v_fmac_f16_e32 v122, v3, v126
	s_wait_dscnt 0x2
	v_lshrrev_b32_e32 v126, 16, v133
	v_fma_f16 v127, v4, v152, -v127
	v_fma_f16 v151, v24, v140, -v151
	v_mul_f16_e64 v140, v118, v140
	v_fma_f16 v3, v3, v182, -v120
	v_fma_f16 v4, v4, v183, -v119
	v_mul_f16_e64 v119, v117, v153
	v_fmac_f16_e32 v13, v23, v14
	v_mul_f16_e32 v14, v117, v14
	v_mul_f16_e32 v120, v117, v22
	v_fma_f16 v2, v2, v179, -v121
	v_lshrrev_b32_e32 v121, 16, v134
	v_fmac_f16_e64 v140, v24, v15
	v_mul_f16_e64 v15, v116, v141
	v_mul_f16_e64 v152, v118, v147
	v_fmac_f16_e64 v119, v23, v129
	v_mul_f16_e64 v129, v117, v129
	v_mul_f16_e64 v154, v118, v126
	;; [unrolled: 3-line block ×3, first 2 shown]
	v_fma_f16 v14, v23, v146, -v14
	s_wait_dscnt 0x0
	v_lshrrev_b32_e32 v146, 16, v5
	v_lshrrev_b32_e32 v148, 16, v18
	v_mul_f16_e64 v179, v118, v121
	v_fmac_f16_e64 v152, v24, v16
	v_mul_f16_e32 v16, v118, v16
	v_fmac_f16_e64 v154, v24, v133
	v_mul_f16_e64 v133, v118, v133
	v_mul_f16_e64 v118, v118, v134
	v_lshrrev_b32_e32 v182, 16, v19
	v_fma_f16 v130, v25, v141, -v130
	v_fmac_f16_e32 v15, v25, v17
	v_mul_f16_e32 v17, v116, v18
	v_fma_f16 v129, v23, v153, -v129
	v_mul_f16_e64 v153, v116, v146
	v_fmac_f16_e64 v179, v24, v134
	v_mul_f16_e64 v134, v116, v148
	v_fma_f16 v16, v24, v147, -v16
	v_fma_f16 v17, v25, v148, -v17
	v_mul_f16_e64 v148, v116, v5
	v_fma_f16 v126, v24, v126, -v133
	v_fmac_f16_e64 v153, v25, v5
	v_fma_f16 v5, v23, v22, -v117
	v_sub_f16_e64 v22, v19, v138
	v_fma_f16 v23, v24, v121, -v118
	v_sub_f16_e64 v24, v182, v137
	v_sub_f16_e64 v117, v185, v140
	;; [unrolled: 1-line block ×7, first 2 shown]
	v_fma_f16 v19, v19, 2.0, -v22
	v_fma_f16 v137, v182, 2.0, -v24
	;; [unrolled: 1-line block ×8, first 2 shown]
	v_add_f16_e32 v118, v22, v118
	v_add_f16_e64 v130, v121, v130
	v_lshrrev_b32_e32 v147, 16, v6
	v_sub_f16_e64 v138, v19, v138
	v_sub_f16_e64 v136, v137, v136
	v_sub_f16_e32 v117, v24, v117
	v_fma_f16 v22, v22, 2.0, -v118
	v_sub_f16_e64 v140, v139, v140
	v_sub_f16_e64 v15, v128, v15
	;; [unrolled: 1-line block ×3, first 2 shown]
	v_fma_f16 v121, v121, 2.0, -v130
	v_fma_f16 v146, v25, v146, -v148
	v_mul_f16_e64 v148, v116, v147
	v_fma_f16 v19, v19, 2.0, -v138
	v_fma_f16 v137, v137, 2.0, -v136
	;; [unrolled: 1-line block ×6, first 2 shown]
	v_fma_f16 v151, 0xb9a8, v121, v22
	v_lshrrev_b32_e32 v141, 16, v20
	v_fmac_f16_e64 v148, v25, v6
	v_mul_f16_e32 v6, v116, v6
	v_sub_f16_e64 v116, v19, v139
	v_fma_f16 v139, 0xb9a8, v128, v24
	v_sub_f16_e64 v135, v137, v135
	v_fmac_f16_e64 v151, 0x39a8, v128
	v_fma_f16 v128, 0x39a8, v130, v118
	v_fmac_f16_e64 v134, v25, v18
	v_fma_f16 v6, v25, v147, -v6
	v_fmac_f16_e64 v139, 0xb9a8, v121
	v_fma_f16 v25, v137, 2.0, -v135
	v_sub_f16_e64 v121, v136, v140
	v_fma_f16 v137, 0x39a8, v15, v117
	v_sub_f16_e64 v140, v20, v186
	v_fmac_f16_e64 v128, 0x39a8, v15
	v_sub_f16_e64 v15, v141, v144
	v_sub_f16_e64 v16, v143, v16
	;; [unrolled: 1-line block ×4, first 2 shown]
	v_sub_f16_e32 v17, v10, v17
	v_fmac_f16_e64 v137, 0xb9a8, v130
	v_sub_f16_e64 v130, v9, v152
	v_fma_f16 v141, v141, 2.0, -v15
	v_fma_f16 v143, v143, 2.0, -v16
	v_sub_f16_e64 v134, v8, v134
	v_fma_f16 v142, v142, 2.0, -v14
	v_fma_f16 v10, v10, 2.0, -v17
	v_add_f16_e64 v16, v140, v16
	v_add_f16_e32 v17, v13, v17
	v_fma_f16 v20, v20, 2.0, -v140
	v_fma_f16 v9, v9, 2.0, -v130
	;; [unrolled: 1-line block ×3, first 2 shown]
	v_sub_f16_e64 v143, v141, v143
	v_fma_f16 v8, v8, 2.0, -v134
	v_sub_f16_e64 v130, v15, v130
	v_fma_f16 v140, v140, 2.0, -v16
	v_sub_f16_e64 v134, v14, v134
	v_sub_f16_e64 v10, v142, v10
	v_fma_f16 v13, v13, 2.0, -v17
	v_fma_f16 v141, v141, 2.0, -v143
	;; [unrolled: 1-line block ×5, first 2 shown]
	v_fma_f16 v147, 0xb9a8, v13, v140
	v_lshrrev_b32_e32 v18, 16, v131
	v_sub_f16_e64 v126, v150, v126
	v_fma_f16 v152, 0xb9a8, v14, v15
	v_sub_f16_e64 v142, v141, v142
	v_fmac_f16_e64 v147, 0x39a8, v14
	v_fma_f16 v14, v117, 2.0, -v137
	v_sub_f16_e64 v124, v131, v124
	v_fmac_f16_e64 v152, 0xb9a8, v13
	v_fma_f16 v13, v141, 2.0, -v142
	v_fma_f16 v117, v140, 2.0, -v147
	v_fma_f16 v140, 0x39a8, v17, v16
	v_fma_f16 v141, 0x39a8, v134, v130
	v_sub_f16_e32 v119, v11, v119
	v_sub_f16_e64 v146, v123, v146
	v_fma_f16 v131, v131, 2.0, -v124
	v_fmac_f16_e64 v140, 0x39a8, v134
	v_fmac_f16_e64 v141, 0xb9a8, v17
	v_sub_f16_e32 v17, v18, v127
	v_sub_f16_e64 v127, v12, v154
	v_fma_f16 v134, v150, 2.0, -v126
	v_sub_f16_e64 v150, v149, v153
	v_sub_f16_e64 v129, v21, v129
	v_fma_f16 v11, v11, 2.0, -v119
	v_fma_f16 v12, v12, 2.0, -v127
	;; [unrolled: 1-line block ×4, first 2 shown]
	v_add_f16_e32 v126, v124, v126
	v_add_f16_e64 v146, v119, v146
	v_fma_f16 v18, v18, 2.0, -v17
	v_sub_f16_e64 v12, v131, v12
	v_sub_f16_e32 v127, v17, v127
	v_fma_f16 v124, v124, 2.0, -v126
	v_sub_f16_e64 v150, v129, v150
	v_sub_f16_e64 v149, v11, v149
	v_fma_f16 v119, v119, 2.0, -v146
	v_lshrrev_b32_e32 v133, 16, v132
	v_fma_f16 v21, v21, 2.0, -v129
	v_sub_f16_e64 v134, v18, v134
	v_fma_f16 v131, v131, 2.0, -v12
	v_fma_f16 v17, v17, 2.0, -v127
	;; [unrolled: 1-line block ×4, first 2 shown]
	v_fma_f16 v153, 0xb9a8, v119, v124
	v_sub_f16_e64 v4, v133, v4
	v_sub_f16_e32 v23, v2, v23
	v_fma_f16 v154, 0xb9a8, v129, v17
	v_sub_f16_e64 v11, v131, v11
	v_fmac_f16_e64 v153, 0x39a8, v129
	v_fma_f16 v129, v130, 2.0, -v141
	v_sub_f16_e64 v130, v134, v149
	v_fma_f16 v149, 0x39a8, v150, v127
	v_sub_f16_e32 v5, v1, v5
	v_sub_f16_e32 v6, v3, v6
	v_fmac_f16_e64 v154, 0xb9a8, v119
	v_fma_f16 v119, v131, 2.0, -v11
	v_fma_f16 v131, 0x39a8, v146, v126
	v_sub_f16_e64 v125, v132, v125
	v_fmac_f16_e64 v149, 0xb9a8, v146
	v_sub_f16_e64 v146, v187, v179
	v_sub_f16_e64 v120, v145, v120
	v_fma_f16 v133, v133, 2.0, -v4
	v_fma_f16 v2, v2, 2.0, -v23
	v_sub_f16_e64 v148, v122, v148
	v_fma_f16 v1, v1, 2.0, -v5
	v_fma_f16 v3, v3, 2.0, -v6
	v_fmac_f16_e64 v131, 0x39a8, v150
	v_fma_f16 v150, v187, 2.0, -v146
	v_sub_f16_e64 v2, v133, v2
	v_fma_f16 v122, v122, 2.0, -v148
	v_add_f16_e32 v23, v125, v23
	v_sub_f16_e64 v146, v4, v146
	v_add_f16_e32 v6, v120, v6
	v_sub_f16_e32 v3, v1, v3
	v_sub_f16_e64 v148, v5, v148
	v_sub_f16_e32 v9, v20, v9
	v_sub_f16_e64 v8, v144, v8
	v_fma_f16 v132, v132, 2.0, -v125
	v_fma_f16 v145, v145, 2.0, -v120
	v_sub_f16_e32 v123, v21, v123
	v_fma_f16 v133, v133, 2.0, -v2
	v_fma_f16 v125, v125, 2.0, -v23
	;; [unrolled: 1-line block ×10, first 2 shown]
	v_add_f16_e64 v7, v138, v7
	v_fma_f16 v24, v24, 2.0, -v139
	v_sub_f16_e64 v150, v132, v150
	v_sub_f16_e64 v122, v145, v122
	v_fma_f16 v18, v18, 2.0, -v134
	v_fma_f16 v21, v21, 2.0, -v123
	v_fma_f16 v179, 0xb9a8, v120, v125
	v_sub_f16_e64 v1, v133, v1
	v_fma_f16 v180, 0xb9a8, v5, v4
	v_sub_f16_e64 v144, v20, v144
	v_add_f16_e32 v10, v9, v10
	v_sub_f16_e64 v8, v143, v8
	v_fma_f16 v138, v138, 2.0, -v7
	v_fma_f16 v136, v136, 2.0, -v121
	;; [unrolled: 1-line block ×3, first 2 shown]
	v_pack_b32_f16 v19, v19, v25
	v_pack_b32_f16 v22, v22, v24
	v_fma_f16 v132, v132, 2.0, -v150
	v_fma_f16 v145, v145, 2.0, -v122
	v_sub_f16_e32 v21, v18, v21
	v_fmac_f16_e64 v179, 0x39a8, v5
	v_fma_f16 v5, v133, 2.0, -v1
	v_fmac_f16_e64 v180, 0xb9a8, v120
	v_fmamk_f16 v120, v6, 0x39a8, v23
	v_fma_f16 v133, 0x39a8, v148, v146
	v_fma_f16 v20, v20, 2.0, -v144
	v_fma_f16 v15, v15, 2.0, -v152
	v_add_f16_e32 v123, v12, v123
	v_fma_f16 v9, v9, 2.0, -v10
	v_fma_f16 v143, v143, 2.0, -v8
	;; [unrolled: 1-line block ×3, first 2 shown]
	global_wb scope:SCOPE_SE
	s_barrier_signal -1
	s_barrier_wait -1
	global_inv scope:SCOPE_SE
	ds_store_2addr_stride64_b32 v52, v19, v22 offset1:8
	v_pack_b32_f16 v19, v138, v136
	v_pack_b32_f16 v14, v118, v14
	v_sub_f16_e64 v145, v132, v145
	v_pack_b32_f16 v22, v116, v135
	v_pack_b32_f16 v24, v151, v139
	v_fma_f16 v18, v18, 2.0, -v21
	v_fma_f16 v124, v124, 2.0, -v153
	v_fma_f16 v17, v17, 2.0, -v154
	v_add_f16_e64 v3, v150, v3
	v_sub_f16_e32 v122, v2, v122
	v_fmac_f16_e64 v120, 0x39a8, v148
	v_fmac_f16_e64 v133, 0xb9a8, v6
	v_pack_b32_f16 v7, v7, v121
	v_pack_b32_f16 v25, v128, v137
	v_fma_f16 v12, v12, 2.0, -v123
	v_fma_f16 v134, v134, 2.0, -v130
	v_fma_f16 v126, v126, 2.0, -v131
	v_fma_f16 v127, v127, 2.0, -v149
	v_pack_b32_f16 v13, v20, v13
	v_pack_b32_f16 v15, v117, v15
	;; [unrolled: 1-line block ×4, first 2 shown]
	ds_store_2addr_stride64_b32 v52, v19, v14 offset0:16 offset1:24
	ds_store_2addr_stride64_b32 v52, v22, v24 offset0:32 offset1:40
	;; [unrolled: 1-line block ×5, first 2 shown]
	v_pack_b32_f16 v7, v144, v142
	v_pack_b32_f16 v9, v147, v152
	v_fma_f16 v132, v132, 2.0, -v145
	v_fma_f16 v125, v125, 2.0, -v179
	;; [unrolled: 1-line block ×3, first 2 shown]
	v_pack_b32_f16 v8, v10, v8
	v_pack_b32_f16 v10, v140, v141
	v_fma_f16 v6, v150, 2.0, -v3
	v_fma_f16 v2, v2, 2.0, -v122
	;; [unrolled: 1-line block ×4, first 2 shown]
	v_pack_b32_f16 v13, v119, v18
	v_pack_b32_f16 v14, v124, v17
	;; [unrolled: 1-line block ×6, first 2 shown]
	ds_store_2addr_stride64_b32 v52, v7, v9 offset0:96 offset1:104
	ds_store_2addr_stride64_b32 v52, v8, v10 offset0:112 offset1:120
	;; [unrolled: 1-line block ×5, first 2 shown]
	v_pack_b32_f16 v7, v123, v130
	v_pack_b32_f16 v8, v131, v149
	;; [unrolled: 1-line block ×10, first 2 shown]
	ds_store_2addr_stride64_b32 v52, v7, v8 offset0:176 offset1:184
	ds_store_2addr_stride64_b32 v52, v5, v4 offset0:192 offset1:200
	;; [unrolled: 1-line block ×5, first 2 shown]
	global_wb scope:SCOPE_SE
	s_wait_dscnt 0x0
	s_barrier_signal -1
	s_barrier_wait -1
	global_inv scope:SCOPE_SE
	ds_load_2addr_stride64_b32 v[1:2], v52 offset1:8
	ds_load_2addr_stride64_b32 v[3:4], v52 offset0:64 offset1:72
	ds_load_2addr_stride64_b32 v[5:6], v52 offset0:128 offset1:136
	;; [unrolled: 1-line block ×15, first 2 shown]
	s_wait_dscnt 0xf
	v_lshrrev_b32_e32 v25, 16, v1
	s_wait_dscnt 0xe
	v_lshrrev_b32_e32 v124, 16, v3
	;; [unrolled: 2-line block ×4, first 2 shown]
	v_lshrrev_b32_e32 v128, 16, v4
	v_lshrrev_b32_e32 v129, 16, v6
	v_mul_f16_e64 v151, v164, v124
	v_lshrrev_b32_e32 v130, 16, v8
	v_mul_f16_e64 v180, v162, v126
	v_mul_f16_e64 v162, v162, v7
	s_wait_dscnt 0xa
	v_lshrrev_b32_e32 v132, 16, v11
	v_fmac_f16_e64 v151, v35, v3
	v_mul_f16_e64 v3, v164, v3
	v_mul_f16_e64 v164, v163, v125
	;; [unrolled: 1-line block ×3, first 2 shown]
	s_wait_dscnt 0x9
	v_lshrrev_b32_e32 v133, 16, v13
	v_fmac_f16_e64 v180, v37, v7
	v_fma_f16 v3, v35, v124, -v3
	v_fmac_f16_e64 v164, v36, v5
	v_fma_f16 v5, v36, v125, -v163
	v_fma_f16 v7, v37, v126, -v162
	v_mul_f16_e64 v35, v161, v128
	v_mul_f16_e64 v36, v161, v4
	;; [unrolled: 1-line block ×5, first 2 shown]
	s_wait_dscnt 0x8
	v_lshrrev_b32_e32 v134, 16, v15
	v_lshrrev_b32_e32 v136, 16, v12
	;; [unrolled: 1-line block ×3, first 2 shown]
	v_fmac_f16_e32 v35, v26, v4
	v_fma_f16 v4, v26, v128, -v36
	v_fmac_f16_e32 v37, v27, v6
	v_fma_f16 v6, v27, v129, -v124
	v_fmac_f16_e32 v125, v28, v8
	v_mul_f16_e64 v8, v157, v8
	v_mul_f16_e64 v26, v159, v132
	v_mul_f16_e64 v27, v159, v11
	v_mul_f16_e64 v36, v158, v133
	v_mul_f16_e64 v124, v158, v13
	v_lshrrev_b32_e32 v138, 16, v16
	s_wait_dscnt 0x6
	v_lshrrev_b32_e32 v140, 16, v19
	v_fma_f16 v8, v28, v130, -v8
	v_fmac_f16_e32 v26, v29, v11
	v_fma_f16 v11, v29, v132, -v27
	v_fmac_f16_e32 v36, v30, v13
	v_fma_f16 v13, v30, v133, -v124
	v_mul_f16_e64 v27, v165, v134
	v_mul_f16_e64 v28, v165, v15
	;; [unrolled: 1-line block ×5, first 2 shown]
	s_wait_dscnt 0x5
	v_lshrrev_b32_e32 v141, 16, v21
	s_wait_dscnt 0x4
	v_lshrrev_b32_e32 v142, 16, v23
	v_lshrrev_b32_e32 v144, 16, v20
	v_fmac_f16_e32 v27, v31, v15
	v_fma_f16 v15, v31, v134, -v28
	v_fmac_f16_e32 v29, v32, v12
	v_fma_f16 v12, v32, v136, -v30
	v_fmac_f16_e32 v124, v33, v14
	v_mul_f16_e64 v14, v155, v14
	v_mul_f16_e64 v28, v166, v138
	;; [unrolled: 1-line block ×5, first 2 shown]
	v_lshrrev_b32_e32 v145, 16, v22
	v_lshrrev_b32_e32 v146, 16, v24
	v_fma_f16 v14, v33, v137, -v14
	v_fmac_f16_e32 v28, v34, v16
	v_fma_f16 v16, v34, v138, -v30
	v_fmac_f16_e32 v31, v41, v19
	v_fma_f16 v19, v41, v140, -v32
	v_mul_f16_e64 v30, v171, v141
	v_mul_f16_e64 v32, v171, v21
	;; [unrolled: 1-line block ×5, first 2 shown]
	s_wait_dscnt 0x2
	v_lshrrev_b32_e32 v148, 16, v118
	s_wait_dscnt 0x1
	v_lshrrev_b32_e32 v149, 16, v120
	v_fmac_f16_e32 v30, v42, v21
	v_fma_f16 v21, v42, v141, -v32
	v_fmac_f16_e32 v33, v43, v23
	v_fma_f16 v23, v43, v142, -v34
	v_fmac_f16_e32 v41, v38, v20
	v_mul_f16_e64 v20, v167, v20
	v_mul_f16_e64 v32, v170, v145
	;; [unrolled: 1-line block ×5, first 2 shown]
	s_wait_dscnt 0x0
	v_lshrrev_b32_e32 v150, 16, v122
	v_lshrrev_b32_e32 v153, 16, v119
	v_fma_f16 v20, v38, v144, -v20
	v_fmac_f16_e32 v32, v39, v22
	v_fma_f16 v22, v39, v145, -v34
	v_fmac_f16_e32 v42, v40, v24
	v_fma_f16 v24, v40, v146, -v43
	v_mul_f16_e64 v34, v176, v148
	v_mul_f16_e64 v38, v176, v118
	;; [unrolled: 1-line block ×4, first 2 shown]
	v_lshrrev_b32_e32 v154, 16, v121
	v_mul_f16_e64 v43, v178, v150
	v_fmac_f16_e32 v34, v47, v118
	v_fma_f16 v38, v47, v148, -v38
	v_fmac_f16_e32 v39, v48, v120
	v_fma_f16 v40, v48, v149, -v40
	v_mul_f16_e64 v47, v178, v122
	v_mul_f16_e64 v48, v173, v153
	v_lshrrev_b32_e32 v179, 16, v123
	v_fmac_f16_e32 v43, v49, v122
	v_mul_f16_e64 v118, v173, v119
	v_mul_f16_e64 v120, v177, v154
	;; [unrolled: 1-line block ×3, first 2 shown]
	v_fma_f16 v47, v49, v150, -v47
	v_fmac_f16_e32 v48, v44, v119
	v_sub_f16_e64 v49, v1, v164
	v_sub_f16_e64 v119, v151, v180
	v_lshrrev_b32_e32 v127, 16, v2
	v_fma_f16 v44, v44, v153, -v118
	v_fmac_f16_e32 v120, v45, v121
	v_fma_f16 v45, v45, v154, -v122
	v_mul_f16_e64 v118, v174, v179
	v_mul_f16_e64 v121, v174, v123
	v_fma_f16 v1, v1, 2.0, -v49
	v_fma_f16 v122, v151, 2.0, -v119
	v_lshrrev_b32_e32 v131, 16, v9
	v_lshrrev_b32_e32 v135, 16, v10
	v_sub_f16_e32 v5, v25, v5
	v_sub_f16_e32 v7, v3, v7
	v_fmac_f16_e32 v118, v46, v123
	v_fma_f16 v46, v46, v179, -v121
	v_sub_f16_e32 v121, v1, v122
	v_sub_f16_e32 v37, v2, v37
	;; [unrolled: 1-line block ×5, first 2 shown]
	v_fma_f16 v25, v25, 2.0, -v5
	v_fma_f16 v3, v3, 2.0, -v7
	;; [unrolled: 1-line block ×6, first 2 shown]
	v_sub_f16_e32 v36, v9, v36
	v_sub_f16_e32 v27, v26, v27
	v_sub_f16_e64 v13, v131, v13
	v_sub_f16_e32 v15, v11, v15
	v_sub_f16_e32 v124, v10, v124
	v_sub_f16_e64 v14, v135, v14
	v_sub_f16_e32 v28, v29, v28
	v_sub_f16_e32 v16, v12, v16
	v_lshrrev_b32_e32 v139, 16, v17
	v_lshrrev_b32_e32 v143, 16, v18
	v_sub_f16_e32 v3, v25, v3
	v_sub_f16_e32 v35, v2, v35
	;; [unrolled: 1-line block ×3, first 2 shown]
	v_fma_f16 v9, v9, 2.0, -v36
	v_fma_f16 v26, v26, 2.0, -v27
	;; [unrolled: 1-line block ×8, first 2 shown]
	v_lshrrev_b32_e32 v147, 16, v116
	v_lshrrev_b32_e32 v152, 16, v117
	v_add_f16_e32 v7, v49, v7
	v_sub_f16_e32 v119, v5, v119
	v_add_f16_e32 v8, v37, v8
	v_sub_f16_e32 v122, v6, v122
	v_sub_f16_e32 v30, v17, v30
	;; [unrolled: 1-line block ×3, first 2 shown]
	v_sub_f16_e64 v21, v139, v21
	v_sub_f16_e32 v23, v19, v23
	v_sub_f16_e32 v32, v18, v32
	v_sub_f16_e32 v42, v41, v42
	v_sub_f16_e64 v22, v143, v22
	v_sub_f16_e32 v24, v20, v24
	v_fma_f16 v1, v1, 2.0, -v121
	v_fma_f16 v25, v25, 2.0, -v3
	;; [unrolled: 1-line block ×4, first 2 shown]
	v_sub_f16_e32 v26, v9, v26
	v_sub_f16_e32 v11, v125, v11
	;; [unrolled: 1-line block ×4, first 2 shown]
	v_fma_f16 v49, v49, 2.0, -v7
	v_fma_f16 v5, v5, 2.0, -v119
	;; [unrolled: 1-line block ×4, first 2 shown]
	v_add_f16_e32 v15, v36, v15
	v_sub_f16_e32 v27, v13, v27
	v_add_f16_e32 v16, v124, v16
	v_fma_f16 v17, v17, 2.0, -v30
	v_fma_f16 v31, v31, 2.0, -v33
	v_sub_f16_e32 v28, v14, v28
	v_fma_f16 v127, v139, 2.0, -v21
	v_fma_f16 v19, v19, 2.0, -v23
	;; [unrolled: 1-line block ×6, first 2 shown]
	v_sub_f16_e32 v39, v116, v39
	v_sub_f16_e64 v40, v147, v40
	v_sub_f16_e32 v43, v34, v43
	v_sub_f16_e32 v47, v38, v47
	;; [unrolled: 1-line block ×3, first 2 shown]
	v_sub_f16_e64 v45, v152, v45
	v_sub_f16_e32 v118, v48, v118
	v_sub_f16_e32 v46, v44, v46
	v_fma_f16 v9, v9, 2.0, -v26
	v_fma_f16 v125, v125, 2.0, -v11
	;; [unrolled: 1-line block ×4, first 2 shown]
	v_pack_b32_f16 v1, v1, v25
	v_pack_b32_f16 v2, v2, v123
	v_fma_f16 v36, v36, 2.0, -v15
	v_fma_f16 v13, v13, 2.0, -v27
	;; [unrolled: 1-line block ×3, first 2 shown]
	v_sub_f16_e32 v31, v17, v31
	v_fma_f16 v14, v14, 2.0, -v28
	v_sub_f16_e32 v19, v127, v19
	v_sub_f16_e32 v41, v18, v41
	v_sub_f16_e64 v20, v128, v20
	v_fma_f16 v116, v116, 2.0, -v39
	v_fma_f16 v129, v147, 2.0, -v40
	;; [unrolled: 1-line block ×8, first 2 shown]
	v_pack_b32_f16 v5, v49, v5
	v_pack_b32_f16 v6, v37, v6
	v_add_f16_e32 v23, v30, v23
	v_sub_f16_e32 v33, v21, v33
	v_add_f16_e32 v24, v32, v24
	v_sub_f16_e32 v42, v22, v42
	v_pack_b32_f16 v3, v121, v3
	v_pack_b32_f16 v4, v35, v4
	;; [unrolled: 1-line block ×3, first 2 shown]
	ds_store_2addr_stride64_b32 v52, v1, v2 offset1:8
	ds_store_2addr_stride64_b32 v52, v5, v6 offset0:64 offset1:72
	ds_store_2addr_stride64_b32 v52, v3, v4 offset0:128 offset1:136
	v_pack_b32_f16 v1, v8, v122
	v_pack_b32_f16 v2, v9, v125
	;; [unrolled: 1-line block ×3, first 2 shown]
	v_fma_f16 v17, v17, 2.0, -v31
	v_fma_f16 v127, v127, 2.0, -v19
	;; [unrolled: 1-line block ×4, first 2 shown]
	v_sub_f16_e32 v34, v116, v34
	v_sub_f16_e64 v38, v129, v38
	v_sub_f16_e32 v48, v117, v48
	v_sub_f16_e64 v44, v130, v44
	v_pack_b32_f16 v3, v36, v13
	v_pack_b32_f16 v6, v124, v14
	v_fma_f16 v30, v30, 2.0, -v23
	v_fma_f16 v21, v21, 2.0, -v33
	;; [unrolled: 1-line block ×4, first 2 shown]
	v_add_f16_e32 v47, v39, v47
	v_sub_f16_e32 v43, v40, v43
	v_add_f16_e32 v46, v120, v46
	v_sub_f16_e32 v118, v45, v118
	v_pack_b32_f16 v4, v26, v11
	v_pack_b32_f16 v8, v29, v12
	ds_store_2addr_stride64_b32 v52, v7, v1 offset0:192 offset1:200
	v_pack_b32_f16 v1, v15, v27
	ds_store_2addr_stride64_b32 v52, v2, v5 offset0:16 offset1:24
	ds_store_2addr_stride64_b32 v52, v3, v6 offset0:80 offset1:88
	;; [unrolled: 1-line block ×3, first 2 shown]
	v_pack_b32_f16 v2, v16, v28
	v_fma_f16 v116, v116, 2.0, -v34
	v_fma_f16 v129, v129, 2.0, -v38
	;; [unrolled: 1-line block ×4, first 2 shown]
	v_pack_b32_f16 v3, v17, v127
	v_pack_b32_f16 v6, v18, v128
	v_fma_f16 v39, v39, 2.0, -v47
	v_fma_f16 v40, v40, 2.0, -v43
	;; [unrolled: 1-line block ×4, first 2 shown]
	v_pack_b32_f16 v4, v30, v21
	v_pack_b32_f16 v7, v32, v22
	;; [unrolled: 1-line block ×4, first 2 shown]
	ds_store_2addr_stride64_b32 v52, v1, v2 offset0:208 offset1:216
	v_pack_b32_f16 v1, v23, v33
	v_pack_b32_f16 v2, v24, v42
	ds_store_2addr_stride64_b32 v52, v3, v6 offset0:32 offset1:40
	ds_store_2addr_stride64_b32 v52, v4, v7 offset0:96 offset1:104
	;; [unrolled: 1-line block ×3, first 2 shown]
	v_pack_b32_f16 v3, v116, v129
	v_pack_b32_f16 v7, v117, v130
	;; [unrolled: 1-line block ×8, first 2 shown]
	ds_store_2addr_stride64_b32 v52, v1, v2 offset0:224 offset1:232
	ds_store_2addr_stride64_b32 v52, v3, v7 offset0:48 offset1:56
	;; [unrolled: 1-line block ×5, first 2 shown]
	global_wb scope:SCOPE_SE
	s_wait_dscnt 0x0
	s_barrier_signal -1
	s_barrier_wait -1
	global_inv scope:SCOPE_SE
	ds_load_2addr_stride64_b32 v[1:2], v52 offset1:8
	ds_load_2addr_stride64_b32 v[5:6], v52 offset0:32 offset1:40
	v_mad_co_u64_u32 v[3:4], null, s6, v50, 0
	v_mad_co_u64_u32 v[7:8], null, s4, v0, 0
	ds_load_2addr_stride64_b32 v[17:18], v52 offset0:224 offset1:232
	s_wait_dscnt 0x2
	v_lshrrev_b32_e32 v11, 16, v1
	v_mul_f16_e32 v12, v115, v1
	s_wait_dscnt 0x1
	v_mad_co_u64_u32 v[9:10], null, s7, v50, v[4:5]
	v_mov_b32_e32 v4, v8
	v_mul_f16_e32 v13, v115, v11
	v_fma_f16 v8, v97, v11, -v12
	v_lshrrev_b32_e32 v10, 16, v5
	s_delay_alu instid0(VALU_DEP_3) | instskip(SKIP_1) | instid1(VALU_DEP_4)
	v_fmac_f16_e32 v13, v97, v1
	v_mad_co_u64_u32 v[0:1], null, s5, v0, v[4:5]
	v_mul_f16_e32 v1, 0x400, v8
	v_mov_b32_e32 v4, v9
	s_delay_alu instid0(VALU_DEP_4)
	v_mul_f16_e32 v8, 0x400, v13
	v_mul_f16_e32 v12, v114, v10
	;; [unrolled: 1-line block ×3, first 2 shown]
	v_lshlrev_b32_e32 v9, 16, v1
	v_lshlrev_b64_e32 v[3:4], 2, v[3:4]
	v_dual_mov_b32 v8, v0 :: v_dual_and_b32 v11, 0xffff, v8
	ds_load_2addr_stride64_b32 v[0:1], v52 offset0:64 offset1:72
	v_fmac_f16_e32 v12, v103, v5
	v_fma_f16 v5, v103, v10, -v13
	v_or_b32_e32 v11, v9, v11
	ds_load_2addr_stride64_b32 v[9:10], v52 offset0:96 offset1:104
	v_lshlrev_b64_e32 v[7:8], 2, v[7:8]
	v_add_co_u32 v3, vcc_lo, s0, v3
	s_wait_alu 0xfffd
	v_add_co_ci_u32_e32 v4, vcc_lo, s1, v4, vcc_lo
	v_mul_f16_e32 v12, 0x400, v12
	s_delay_alu instid0(VALU_DEP_3)
	v_add_co_u32 v3, vcc_lo, v3, v7
	v_mul_f16_e32 v5, 0x400, v5
	s_wait_alu 0xfffd
	v_add_co_ci_u32_e32 v4, vcc_lo, v4, v8, vcc_lo
	ds_load_2addr_stride64_b32 v[7:8], v52 offset0:128 offset1:136
	v_and_b32_e32 v12, 0xffff, v12
	v_lshlrev_b32_e32 v5, 16, v5
	global_store_b32 v[3:4], v11, off
	s_wait_dscnt 0x2
	v_lshrrev_b32_e32 v13, 16, v0
	s_lshl_b64 s[0:1], s[4:5], 13
	v_or_b32_e32 v5, v5, v12
	v_mul_f16_e32 v12, v113, v0
	s_delay_alu instid0(VALU_DEP_3)
	v_mul_f16_e32 v11, v113, v13
	s_wait_dscnt 0x1
	v_lshrrev_b32_e32 v14, 16, v9
	s_wait_alu 0xfffe
	v_add_co_u32 v3, vcc_lo, v3, s0
	s_wait_alu 0xfffd
	v_add_co_ci_u32_e32 v4, vcc_lo, s1, v4, vcc_lo
	v_fma_f16 v12, v91, v13, -v12
	v_fmac_f16_e32 v11, v91, v0
	v_mul_f16_e32 v0, v112, v14
	v_mul_f16_e32 v13, v112, v9
	global_store_b32 v[3:4], v5, off
	v_mul_f16_e32 v5, 0x400, v12
	v_mul_f16_e32 v11, 0x400, v11
	v_fmac_f16_e32 v0, v101, v9
	v_fma_f16 v9, v101, v14, -v13
	s_wait_dscnt 0x0
	v_lshrrev_b32_e32 v13, 16, v7
	v_lshlrev_b32_e32 v5, 16, v5
	v_and_b32_e32 v14, 0xffff, v11
	v_mul_f16_e32 v16, v111, v7
	ds_load_2addr_stride64_b32 v[11:12], v52 offset0:160 offset1:168
	v_mul_f16_e32 v15, v111, v13
	v_mul_f16_e32 v0, 0x400, v0
	;; [unrolled: 1-line block ×3, first 2 shown]
	v_or_b32_e32 v5, v5, v14
	v_add_co_u32 v3, vcc_lo, v3, s0
	v_fmac_f16_e32 v15, v94, v7
	v_fma_f16 v7, v94, v13, -v16
	ds_load_2addr_stride64_b32 v[13:14], v52 offset0:192 offset1:200
	v_lshlrev_b32_e32 v9, 16, v9
	v_and_b32_e32 v0, 0xffff, v0
	s_wait_alu 0xfffd
	v_add_co_ci_u32_e32 v4, vcc_lo, s1, v4, vcc_lo
	v_mul_f16_e32 v7, 0x400, v7
	s_delay_alu instid0(VALU_DEP_3) | instskip(SKIP_2) | instid1(VALU_DEP_4)
	v_or_b32_e32 v0, v9, v0
	v_mul_f16_e32 v9, 0x400, v15
	v_add_co_u32 v15, vcc_lo, v3, s0
	v_lshlrev_b32_e32 v7, 16, v7
	s_wait_dscnt 0x1
	v_lshrrev_b32_e32 v19, 16, v11
	v_and_b32_e32 v9, 0xffff, v9
	s_wait_alu 0xfffd
	v_add_co_ci_u32_e32 v16, vcc_lo, s1, v4, vcc_lo
	s_clause 0x1
	global_store_b32 v[3:4], v5, off
	global_store_b32 v[15:16], v0, off
	v_or_b32_e32 v0, v7, v9
	v_mul_f16_e32 v5, v110, v19
	v_mul_f16_e32 v7, v110, v11
	s_wait_dscnt 0x0
	v_lshrrev_b32_e32 v9, 16, v13
	v_add_co_u32 v3, vcc_lo, v15, s0
	s_wait_alu 0xfffd
	v_add_co_ci_u32_e32 v4, vcc_lo, s1, v16, vcc_lo
	v_fma_f16 v7, v67, v19, -v7
	v_fmac_f16_e32 v5, v67, v11
	v_mul_f16_e32 v11, v109, v13
	v_mul_f16_e32 v15, v109, v9
	global_store_b32 v[3:4], v0, off
	v_mul_f16_e32 v0, 0x400, v7
	v_mul_f16_e32 v5, 0x400, v5
	v_fma_f16 v7, v93, v9, -v11
	v_fmac_f16_e32 v15, v93, v13
	v_lshrrev_b32_e32 v9, 16, v17
	v_lshlrev_b32_e32 v0, 16, v0
	v_and_b32_e32 v5, 0xffff, v5
	v_mul_f16_e32 v7, 0x400, v7
	v_mul_f16_e32 v11, 0x400, v15
	;; [unrolled: 1-line block ×4, first 2 shown]
	v_or_b32_e32 v0, v0, v5
	v_lshlrev_b32_e32 v5, 16, v7
	v_and_b32_e32 v7, 0xffff, v11
	v_fmac_f16_e32 v13, v71, v17
	v_fma_f16 v9, v71, v9, -v15
	v_lshrrev_b32_e32 v11, 16, v2
	v_add_co_u32 v3, vcc_lo, v3, s0
	v_or_b32_e32 v5, v5, v7
	v_mul_f16_e32 v7, 0x400, v13
	v_mul_f16_e32 v9, 0x400, v9
	s_wait_alu 0xfffd
	v_add_co_ci_u32_e32 v4, vcc_lo, s1, v4, vcc_lo
	v_mul_f16_e32 v13, v107, v11
	v_mul_f16_e32 v17, v107, v2
	v_add_co_u32 v15, vcc_lo, v3, s0
	v_lshlrev_b32_e32 v9, 16, v9
	v_and_b32_e32 v7, 0xffff, v7
	s_wait_alu 0xfffd
	v_add_co_ci_u32_e32 v16, vcc_lo, s1, v4, vcc_lo
	v_fmac_f16_e32 v13, v82, v2
	v_fma_f16 v2, v82, v11, -v17
	global_store_b32 v[3:4], v0, off
	global_store_b32 v[15:16], v5, off
	v_or_b32_e32 v0, v9, v7
	v_lshrrev_b32_e32 v7, 16, v6
	v_mul_f16_e32 v4, 0x400, v13
	v_mul_f16_e32 v5, 0x400, v2
	v_add_co_u32 v2, vcc_lo, v15, s0
	s_wait_alu 0xfffd
	v_add_co_ci_u32_e32 v3, vcc_lo, s1, v16, vcc_lo
	v_mul_f16_e32 v9, v106, v7
	v_mul_f16_e32 v11, v106, v6
	v_lshlrev_b32_e32 v5, 16, v5
	v_and_b32_e32 v4, 0xffff, v4
	global_store_b32 v[2:3], v0, off
	v_fmac_f16_e32 v9, v89, v6
	v_fma_f16 v0, v89, v7, -v11
	v_lshrrev_b32_e32 v6, 16, v1
	v_or_b32_e32 v4, v5, v4
	v_add_co_u32 v2, vcc_lo, v2, s2
	v_mul_f16_e32 v5, 0x400, v9
	v_mul_f16_e32 v0, 0x400, v0
	;; [unrolled: 1-line block ×4, first 2 shown]
	s_wait_alu 0xfffd
	v_add_co_ci_u32_e32 v3, vcc_lo, s3, v3, vcc_lo
	v_lshlrev_b32_e32 v0, 16, v0
	v_and_b32_e32 v5, 0xffff, v5
	v_fmac_f16_e32 v7, v77, v1
	v_fma_f16 v1, v77, v6, -v9
	v_lshrrev_b32_e32 v6, 16, v10
	global_store_b32 v[2:3], v4, off
	v_or_b32_e32 v4, v0, v5
	v_mul_f16_e32 v5, 0x400, v7
	v_mul_f16_e32 v7, 0x400, v1
	v_mul_f16_e32 v9, v104, v6
	v_mul_f16_e32 v11, v104, v10
	v_add_co_u32 v0, vcc_lo, v2, s0
	s_wait_alu 0xfffd
	v_add_co_ci_u32_e32 v1, vcc_lo, s1, v3, vcc_lo
	v_lshlrev_b32_e32 v2, 16, v7
	v_and_b32_e32 v3, 0xffff, v5
	v_fmac_f16_e32 v9, v88, v10
	v_fma_f16 v5, v88, v6, -v11
	v_lshrrev_b32_e32 v6, 16, v8
	global_store_b32 v[0:1], v4, off
	v_or_b32_e32 v2, v2, v3
	v_mul_f16_e32 v3, 0x400, v9
	v_mul_f16_e32 v4, 0x400, v5
	v_mul_f16_e32 v5, v102, v6
	v_mul_f16_e32 v7, v102, v8
	v_add_co_u32 v0, vcc_lo, v0, s0
	;; [unrolled: 14-line block ×4, first 2 shown]
	s_delay_alu instid0(VALU_DEP_4)
	v_lshlrev_b32_e32 v6, 16, v3
	v_and_b32_e32 v9, 0xffff, v2
	v_fmac_f16_e32 v4, v80, v14
	v_fma_f16 v5, v80, v7, -v5
	ds_load_2addr_stride64_b32 v[2:3], v52 offset0:16 offset1:24
	s_wait_alu 0xfffd
	v_add_co_ci_u32_e32 v1, vcc_lo, s1, v1, vcc_lo
	v_mul_f16_e32 v11, 0x400, v4
	v_mul_f16_e32 v12, 0x400, v5
	ds_load_2addr_stride64_b32 v[4:5], v52 offset0:48 offset1:56
	v_lshrrev_b32_e32 v10, 16, v18
	v_or_b32_e32 v9, v6, v9
	v_add_co_u32 v6, vcc_lo, v0, s0
	s_wait_alu 0xfffd
	v_add_co_ci_u32_e32 v7, vcc_lo, s1, v1, vcc_lo
	v_mul_f16_e32 v13, v98, v10
	v_mul_f16_e32 v14, v98, v18
	v_lshlrev_b32_e32 v12, 16, v12
	v_and_b32_e32 v11, 0xffff, v11
	global_store_b32 v[0:1], v8, off
	global_store_b32 v[6:7], v9, off
	v_add_co_u32 v0, vcc_lo, v6, s0
	v_fmac_f16_e32 v13, v63, v18
	v_fma_f16 v10, v63, v10, -v14
	v_or_b32_e32 v8, v12, v11
	s_wait_dscnt 0x1
	v_lshrrev_b32_e32 v11, 16, v2
	s_wait_alu 0xfffd
	v_add_co_ci_u32_e32 v1, vcc_lo, s1, v7, vcc_lo
	ds_load_2addr_stride64_b32 v[6:7], v52 offset0:80 offset1:88
	v_mul_f16_e32 v9, 0x400, v13
	v_mul_f16_e32 v10, 0x400, v10
	;; [unrolled: 1-line block ×4, first 2 shown]
	s_wait_dscnt 0x1
	v_lshrrev_b32_e32 v14, 16, v4
	v_and_b32_e32 v9, 0xffff, v9
	v_lshlrev_b32_e32 v10, 16, v10
	global_store_b32 v[0:1], v8, off
	v_fmac_f16_e32 v12, v64, v2
	v_fma_f16 v2, v64, v11, -v13
	v_mul_f16_e32 v11, v95, v14
	v_mul_f16_e32 v8, v95, v4
	v_or_b32_e32 v10, v10, v9
	v_mul_f16_e32 v12, 0x400, v12
	v_mul_f16_e32 v2, 0x400, v2
	v_fmac_f16_e32 v11, v73, v4
	v_fma_f16 v13, v73, v14, -v8
	ds_load_2addr_stride64_b32 v[8:9], v52 offset0:112 offset1:120
	v_add_co_u32 v0, vcc_lo, v0, s0
	s_wait_alu 0xfffd
	v_add_co_ci_u32_e32 v1, vcc_lo, s1, v1, vcc_lo
	v_lshlrev_b32_e32 v2, 16, v2
	v_and_b32_e32 v4, 0xffff, v12
	v_mul_f16_e32 v12, 0x400, v13
	v_mul_f16_e32 v11, 0x400, v11
	s_wait_dscnt 0x1
	v_lshrrev_b32_e32 v13, 16, v6
	global_store_b32 v[0:1], v10, off
	v_or_b32_e32 v2, v2, v4
	v_lshlrev_b32_e32 v4, 16, v12
	v_and_b32_e32 v10, 0xffff, v11
	v_mul_f16_e32 v14, v92, v13
	v_mul_f16_e32 v11, v92, v6
	v_add_co_u32 v0, vcc_lo, v0, s2
	s_delay_alu instid0(VALU_DEP_4) | instskip(NEXT) | instid1(VALU_DEP_4)
	v_or_b32_e32 v4, v4, v10
	v_fmac_f16_e32 v14, v61, v6
	s_delay_alu instid0(VALU_DEP_4)
	v_fma_f16 v6, v61, v13, -v11
	ds_load_2addr_stride64_b32 v[10:11], v52 offset0:144 offset1:152
	s_wait_alu 0xfffd
	v_add_co_ci_u32_e32 v1, vcc_lo, s3, v1, vcc_lo
	s_wait_dscnt 0x1
	v_lshrrev_b32_e32 v16, 16, v8
	v_mul_f16_e32 v17, 0x400, v14
	ds_load_2addr_stride64_b32 v[14:15], v52 offset0:176 offset1:184
	v_add_co_u32 v12, vcc_lo, v0, s0
	s_wait_alu 0xfffd
	v_add_co_ci_u32_e32 v13, vcc_lo, s1, v1, vcc_lo
	v_mul_f16_e32 v6, 0x400, v6
	v_mul_f16_e32 v18, v90, v16
	;; [unrolled: 1-line block ×3, first 2 shown]
	global_store_b32 v[0:1], v2, off
	global_store_b32 v[12:13], v4, off
	v_add_co_u32 v0, vcc_lo, v12, s0
	v_lshlrev_b32_e32 v6, 16, v6
	v_and_b32_e32 v17, 0xffff, v17
	v_fmac_f16_e32 v18, v69, v8
	v_fma_f16 v8, v69, v16, -v19
	s_wait_alu 0xfffd
	v_add_co_ci_u32_e32 v1, vcc_lo, s1, v13, vcc_lo
	ds_load_2addr_stride64_b32 v[12:13], v52 offset0:208 offset1:216
	v_or_b32_e32 v2, v6, v17
	v_mul_f16_e32 v4, 0x400, v18
	v_mul_f16_e32 v6, 0x400, v8
	s_wait_dscnt 0x2
	v_lshrrev_b32_e32 v8, 16, v10
	v_mul_f16_e32 v17, v86, v10
	s_wait_dscnt 0x1
	v_lshrrev_b32_e32 v18, 16, v14
	v_and_b32_e32 v4, 0xffff, v4
	v_lshlrev_b32_e32 v6, 16, v6
	v_mul_f16_e32 v16, v86, v8
	global_store_b32 v[0:1], v2, off
	v_add_co_u32 v0, vcc_lo, v0, s0
	v_or_b32_e32 v2, v6, v4
	v_fmac_f16_e32 v16, v60, v10
	v_fma_f16 v4, v60, v8, -v17
	v_mul_f16_e32 v6, v85, v18
	v_mul_f16_e32 v8, v85, v14
	s_wait_alu 0xfffd
	v_add_co_ci_u32_e32 v1, vcc_lo, s1, v1, vcc_lo
	v_mul_f16_e32 v4, 0x400, v4
	v_mul_f16_e32 v10, 0x400, v16
	v_fmac_f16_e32 v6, v70, v14
	v_fma_f16 v8, v70, v18, -v8
	s_wait_dscnt 0x0
	v_lshrrev_b32_e32 v14, 16, v12
	ds_load_2addr_stride64_b32 v[16:17], v52 offset0:240 offset1:248
	v_lshlrev_b32_e32 v4, 16, v4
	v_and_b32_e32 v10, 0xffff, v10
	v_mul_f16_e32 v6, 0x400, v6
	v_mul_f16_e32 v8, 0x400, v8
	v_mul_f16_e32 v20, v84, v14
	v_mul_f16_e32 v18, v84, v12
	v_or_b32_e32 v4, v4, v10
	v_and_b32_e32 v6, 0xffff, v6
	v_lshlrev_b32_e32 v8, 16, v8
	v_fmac_f16_e32 v20, v62, v12
	v_fma_f16 v10, v62, v14, -v18
	v_add_co_u32 v18, vcc_lo, v0, s0
	s_delay_alu instid0(VALU_DEP_4) | instskip(NEXT) | instid1(VALU_DEP_4)
	v_or_b32_e32 v6, v8, v6
	v_mul_f16_e32 v8, 0x400, v20
	s_delay_alu instid0(VALU_DEP_4) | instskip(SKIP_3) | instid1(VALU_DEP_3)
	v_mul_f16_e32 v10, 0x400, v10
	s_wait_alu 0xfffd
	v_add_co_ci_u32_e32 v19, vcc_lo, s1, v1, vcc_lo
	v_add_co_u32 v20, vcc_lo, v18, s0
	v_lshlrev_b32_e32 v10, 16, v10
	v_and_b32_e32 v8, 0xffff, v8
	s_wait_dscnt 0x0
	v_lshrrev_b32_e32 v12, 16, v16
	s_wait_alu 0xfffd
	v_add_co_ci_u32_e32 v21, vcc_lo, s1, v19, vcc_lo
	global_store_b32 v[0:1], v2, off
	global_store_b32 v[18:19], v4, off
	;; [unrolled: 1-line block ×3, first 2 shown]
	v_or_b32_e32 v2, v10, v8
	v_mul_f16_e32 v4, v83, v12
	v_mul_f16_e32 v6, v83, v16
	v_lshrrev_b32_e32 v8, 16, v3
	v_add_co_u32 v0, vcc_lo, v20, s0
	s_wait_alu 0xfffd
	v_add_co_ci_u32_e32 v1, vcc_lo, s1, v21, vcc_lo
	v_fma_f16 v6, v65, v12, -v6
	v_fmac_f16_e32 v4, v65, v16
	v_mul_f16_e32 v10, v81, v3
	v_mul_f16_e32 v12, v81, v8
	global_store_b32 v[0:1], v2, off
	v_mul_f16_e32 v2, 0x400, v6
	v_mul_f16_e32 v4, 0x400, v4
	v_fma_f16 v6, v59, v8, -v10
	v_fmac_f16_e32 v12, v59, v3
	v_lshrrev_b32_e32 v3, 16, v5
	v_lshlrev_b32_e32 v2, 16, v2
	v_and_b32_e32 v4, 0xffff, v4
	v_mul_f16_e32 v6, 0x400, v6
	v_mul_f16_e32 v8, 0x400, v12
	;; [unrolled: 1-line block ×4, first 2 shown]
	v_or_b32_e32 v4, v2, v4
	v_lshlrev_b32_e32 v2, 16, v6
	v_and_b32_e32 v6, 0xffff, v8
	v_fmac_f16_e32 v10, v55, v5
	v_fma_f16 v3, v55, v3, -v12
	v_add_co_u32 v0, vcc_lo, v0, s0
	s_delay_alu instid0(VALU_DEP_4) | instskip(NEXT) | instid1(VALU_DEP_4)
	v_or_b32_e32 v5, v2, v6
	v_mul_f16_e32 v6, 0x400, v10
	s_delay_alu instid0(VALU_DEP_4)
	v_mul_f16_e32 v8, 0x400, v3
	s_wait_alu 0xfffd
	v_add_co_ci_u32_e32 v1, vcc_lo, s1, v1, vcc_lo
	v_lshrrev_b32_e32 v10, 16, v7
	v_add_co_u32 v2, vcc_lo, v0, s2
	v_lshlrev_b32_e32 v8, 16, v8
	v_and_b32_e32 v6, 0xffff, v6
	v_mul_f16_e32 v14, v76, v7
	s_wait_alu 0xfffd
	v_add_co_ci_u32_e32 v3, vcc_lo, s3, v1, vcc_lo
	v_mul_f16_e32 v12, v76, v10
	global_store_b32 v[0:1], v4, off
	global_store_b32 v[2:3], v5, off
	v_or_b32_e32 v4, v8, v6
	v_fma_f16 v5, v57, v10, -v14
	v_lshrrev_b32_e32 v6, 16, v9
	v_fmac_f16_e32 v12, v57, v7
	v_add_co_u32 v0, vcc_lo, v2, s0
	s_delay_alu instid0(VALU_DEP_4) | instskip(NEXT) | instid1(VALU_DEP_4)
	v_mul_f16_e32 v2, 0x400, v5
	v_mul_f16_e32 v5, v75, v6
	;; [unrolled: 1-line block ×3, first 2 shown]
	v_lshrrev_b32_e32 v8, 16, v11
	s_wait_alu 0xfffd
	v_add_co_ci_u32_e32 v1, vcc_lo, s1, v3, vcc_lo
	v_mul_f16_e32 v3, 0x400, v12
	v_fmac_f16_e32 v5, v53, v9
	v_fma_f16 v6, v53, v6, -v7
	v_mul_f16_e32 v7, v74, v8
	v_mul_f16_e32 v9, v74, v11
	v_lshlrev_b32_e32 v2, 16, v2
	v_and_b32_e32 v3, 0xffff, v3
	v_mul_f16_e32 v5, 0x400, v5
	v_mul_f16_e32 v6, 0x400, v6
	v_fmac_f16_e32 v7, v58, v11
	v_fma_f16 v8, v58, v8, -v9
	v_or_b32_e32 v10, v2, v3
	v_add_co_u32 v2, vcc_lo, v0, s0
	v_lshlrev_b32_e32 v6, 16, v6
	v_and_b32_e32 v5, 0xffff, v5
	v_mul_f16_e32 v8, 0x400, v8
	v_mul_f16_e32 v7, 0x400, v7
	s_wait_alu 0xfffd
	v_add_co_ci_u32_e32 v3, vcc_lo, s1, v1, vcc_lo
	global_store_b32 v[0:1], v4, off
	global_store_b32 v[2:3], v10, off
	v_or_b32_e32 v10, v6, v5
	v_lshlrev_b32_e32 v4, 16, v8
	v_and_b32_e32 v5, 0xffff, v7
	v_lshrrev_b32_e32 v6, 16, v15
	v_mul_f16_e32 v7, v72, v15
	v_lshrrev_b32_e32 v9, 16, v17
	v_add_co_u32 v0, vcc_lo, v2, s0
	v_or_b32_e32 v11, v4, v5
	v_mul_f16_e32 v4, v72, v6
	v_fma_f16 v5, v51, v6, -v7
	v_lshrrev_b32_e32 v6, 16, v13
	v_mul_f16_e32 v7, v68, v13
	v_mul_f16_e32 v12, v66, v17
	v_fmac_f16_e32 v4, v51, v15
	v_mul_f16_e32 v5, 0x400, v5
	v_mul_f16_e32 v8, v68, v6
	v_fma_f16 v6, v56, v6, -v7
	v_mul_f16_e32 v7, v66, v9
	v_mul_f16_e32 v4, 0x400, v4
	s_wait_alu 0xfffd
	v_add_co_ci_u32_e32 v1, vcc_lo, s1, v3, vcc_lo
	v_fmac_f16_e32 v8, v56, v13
	v_add_co_u32 v2, vcc_lo, v0, s0
	v_lshlrev_b32_e32 v5, 16, v5
	v_and_b32_e32 v4, 0xffff, v4
	v_mul_f16_e32 v6, 0x400, v6
	v_mul_f16_e32 v8, 0x400, v8
	v_fmac_f16_e32 v7, v54, v17
	v_fma_f16 v9, v54, v9, -v12
	s_wait_alu 0xfffd
	v_add_co_ci_u32_e32 v3, vcc_lo, s1, v1, vcc_lo
	v_or_b32_e32 v12, v5, v4
	v_lshlrev_b32_e32 v6, 16, v6
	v_and_b32_e32 v8, 0xffff, v8
	v_mul_f16_e32 v7, 0x400, v7
	v_mul_f16_e32 v9, 0x400, v9
	v_add_co_u32 v4, vcc_lo, v2, s0
	s_wait_alu 0xfffd
	v_add_co_ci_u32_e32 v5, vcc_lo, s1, v3, vcc_lo
	v_or_b32_e32 v13, v6, v8
	v_lshlrev_b32_e32 v8, 16, v9
	v_and_b32_e32 v9, 0xffff, v7
	v_add_co_u32 v6, vcc_lo, v4, s0
	s_wait_alu 0xfffd
	v_add_co_ci_u32_e32 v7, vcc_lo, s1, v5, vcc_lo
	s_delay_alu instid0(VALU_DEP_3) | instskip(NEXT) | instid1(VALU_DEP_3)
	v_or_b32_e32 v14, v8, v9
	v_add_co_u32 v8, vcc_lo, v6, s0
	s_wait_alu 0xfffd
	s_delay_alu instid0(VALU_DEP_3)
	v_add_co_ci_u32_e32 v9, vcc_lo, s1, v7, vcc_lo
	global_store_b32 v[0:1], v10, off
	global_store_b32 v[2:3], v11, off
	;; [unrolled: 1-line block ×5, first 2 shown]
.LBB0_2:
	s_nop 0
	s_sendmsg sendmsg(MSG_DEALLOC_VGPRS)
	s_endpgm
	.section	.rodata,"a",@progbits
	.p2align	6, 0x0
	.amdhsa_kernel bluestein_single_fwd_len16384_dim1_half_op_CI_CI
		.amdhsa_group_segment_fixed_size 65536
		.amdhsa_private_segment_fixed_size 0
		.amdhsa_kernarg_size 104
		.amdhsa_user_sgpr_count 2
		.amdhsa_user_sgpr_dispatch_ptr 0
		.amdhsa_user_sgpr_queue_ptr 0
		.amdhsa_user_sgpr_kernarg_segment_ptr 1
		.amdhsa_user_sgpr_dispatch_id 0
		.amdhsa_user_sgpr_private_segment_size 0
		.amdhsa_wavefront_size32 1
		.amdhsa_uses_dynamic_stack 0
		.amdhsa_enable_private_segment 0
		.amdhsa_system_sgpr_workgroup_id_x 1
		.amdhsa_system_sgpr_workgroup_id_y 0
		.amdhsa_system_sgpr_workgroup_id_z 0
		.amdhsa_system_sgpr_workgroup_info 0
		.amdhsa_system_vgpr_workitem_id 0
		.amdhsa_next_free_vgpr 229
		.amdhsa_next_free_sgpr 20
		.amdhsa_reserve_vcc 1
		.amdhsa_float_round_mode_32 0
		.amdhsa_float_round_mode_16_64 0
		.amdhsa_float_denorm_mode_32 3
		.amdhsa_float_denorm_mode_16_64 3
		.amdhsa_fp16_overflow 0
		.amdhsa_workgroup_processor_mode 1
		.amdhsa_memory_ordered 1
		.amdhsa_forward_progress 0
		.amdhsa_round_robin_scheduling 0
		.amdhsa_exception_fp_ieee_invalid_op 0
		.amdhsa_exception_fp_denorm_src 0
		.amdhsa_exception_fp_ieee_div_zero 0
		.amdhsa_exception_fp_ieee_overflow 0
		.amdhsa_exception_fp_ieee_underflow 0
		.amdhsa_exception_fp_ieee_inexact 0
		.amdhsa_exception_int_div_zero 0
	.end_amdhsa_kernel
	.text
.Lfunc_end0:
	.size	bluestein_single_fwd_len16384_dim1_half_op_CI_CI, .Lfunc_end0-bluestein_single_fwd_len16384_dim1_half_op_CI_CI
                                        ; -- End function
	.section	.AMDGPU.csdata,"",@progbits
; Kernel info:
; codeLenInByte = 38480
; NumSgprs: 22
; NumVgprs: 229
; ScratchSize: 0
; MemoryBound: 0
; FloatMode: 240
; IeeeMode: 1
; LDSByteSize: 65536 bytes/workgroup (compile time only)
; SGPRBlocks: 2
; VGPRBlocks: 28
; NumSGPRsForWavesPerEU: 22
; NumVGPRsForWavesPerEU: 229
; Occupancy: 6
; WaveLimiterHint : 1
; COMPUTE_PGM_RSRC2:SCRATCH_EN: 0
; COMPUTE_PGM_RSRC2:USER_SGPR: 2
; COMPUTE_PGM_RSRC2:TRAP_HANDLER: 0
; COMPUTE_PGM_RSRC2:TGID_X_EN: 1
; COMPUTE_PGM_RSRC2:TGID_Y_EN: 0
; COMPUTE_PGM_RSRC2:TGID_Z_EN: 0
; COMPUTE_PGM_RSRC2:TIDIG_COMP_CNT: 0
	.text
	.p2alignl 7, 3214868480
	.fill 96, 4, 3214868480
	.type	__hip_cuid_18aac3ebffe4c411,@object ; @__hip_cuid_18aac3ebffe4c411
	.section	.bss,"aw",@nobits
	.globl	__hip_cuid_18aac3ebffe4c411
__hip_cuid_18aac3ebffe4c411:
	.byte	0                               ; 0x0
	.size	__hip_cuid_18aac3ebffe4c411, 1

	.ident	"AMD clang version 19.0.0git (https://github.com/RadeonOpenCompute/llvm-project roc-6.4.0 25133 c7fe45cf4b819c5991fe208aaa96edf142730f1d)"
	.section	".note.GNU-stack","",@progbits
	.addrsig
	.addrsig_sym __hip_cuid_18aac3ebffe4c411
	.amdgpu_metadata
---
amdhsa.kernels:
  - .args:
      - .actual_access:  read_only
        .address_space:  global
        .offset:         0
        .size:           8
        .value_kind:     global_buffer
      - .actual_access:  read_only
        .address_space:  global
        .offset:         8
        .size:           8
        .value_kind:     global_buffer
      - .actual_access:  read_only
        .address_space:  global
        .offset:         16
        .size:           8
        .value_kind:     global_buffer
      - .actual_access:  read_only
        .address_space:  global
        .offset:         24
        .size:           8
        .value_kind:     global_buffer
      - .actual_access:  read_only
        .address_space:  global
        .offset:         32
        .size:           8
        .value_kind:     global_buffer
      - .offset:         40
        .size:           8
        .value_kind:     by_value
      - .address_space:  global
        .offset:         48
        .size:           8
        .value_kind:     global_buffer
      - .address_space:  global
        .offset:         56
        .size:           8
        .value_kind:     global_buffer
      - .address_space:  global
        .offset:         64
        .size:           8
        .value_kind:     global_buffer
      - .address_space:  global
        .offset:         72
        .size:           8
        .value_kind:     global_buffer
      - .offset:         80
        .size:           4
        .value_kind:     by_value
      - .address_space:  global
        .offset:         88
        .size:           8
        .value_kind:     global_buffer
      - .address_space:  global
        .offset:         96
        .size:           8
        .value_kind:     global_buffer
    .group_segment_fixed_size: 65536
    .kernarg_segment_align: 8
    .kernarg_segment_size: 104
    .language:       OpenCL C
    .language_version:
      - 2
      - 0
    .max_flat_workgroup_size: 512
    .name:           bluestein_single_fwd_len16384_dim1_half_op_CI_CI
    .private_segment_fixed_size: 0
    .sgpr_count:     22
    .sgpr_spill_count: 0
    .symbol:         bluestein_single_fwd_len16384_dim1_half_op_CI_CI.kd
    .uniform_work_group_size: 1
    .uses_dynamic_stack: false
    .vgpr_count:     229
    .vgpr_spill_count: 0
    .wavefront_size: 32
    .workgroup_processor_mode: 1
amdhsa.target:   amdgcn-amd-amdhsa--gfx1201
amdhsa.version:
  - 1
  - 2
...

	.end_amdgpu_metadata
